;; amdgpu-corpus repo=ROCm/rocFFT kind=compiled arch=gfx906 opt=O3
	.text
	.amdgcn_target "amdgcn-amd-amdhsa--gfx906"
	.amdhsa_code_object_version 6
	.protected	bluestein_single_back_len1183_dim1_sp_op_CI_CI ; -- Begin function bluestein_single_back_len1183_dim1_sp_op_CI_CI
	.globl	bluestein_single_back_len1183_dim1_sp_op_CI_CI
	.p2align	8
	.type	bluestein_single_back_len1183_dim1_sp_op_CI_CI,@function
bluestein_single_back_len1183_dim1_sp_op_CI_CI: ; @bluestein_single_back_len1183_dim1_sp_op_CI_CI
; %bb.0:
	s_load_dwordx4 s[0:3], s[4:5], 0x28
	v_mul_u32_u24_e32 v1, 0x2d1, v0
	v_lshrrev_b32_e32 v4, 16, v1
	v_lshl_add_u32 v82, s6, 1, v4
	v_mov_b32_e32 v83, 0
	s_waitcnt lgkmcnt(0)
	v_cmp_gt_u64_e32 vcc, s[0:1], v[82:83]
	s_and_saveexec_b64 s[0:1], vcc
	s_cbranch_execz .LBB0_15
; %bb.1:
	s_load_dwordx4 s[8:11], s[4:5], 0x18
	v_mul_lo_u16_e32 v1, 0x5b, v4
	v_sub_u16_e32 v94, v0, v1
	v_lshlrev_b32_e32 v19, 3, v94
	v_mov_b32_e32 v20, 0x49f
	s_waitcnt lgkmcnt(0)
	s_load_dwordx4 s[12:15], s[8:9], 0x0
	s_load_dwordx2 s[6:7], s[4:5], 0x38
	s_waitcnt lgkmcnt(0)
	v_mad_u64_u32 v[0:1], s[0:1], s14, v82, 0
	v_mad_u64_u32 v[2:3], s[0:1], s12, v94, 0
	;; [unrolled: 1-line block ×4, first 2 shown]
	v_mov_b32_e32 v1, v5
	s_load_dwordx2 s[14:15], s[4:5], 0x0
	v_lshlrev_b64 v[0:1], 3, v[0:1]
	v_mov_b32_e32 v7, s3
	v_mov_b32_e32 v3, v6
	v_add_co_u32_e32 v5, vcc, s2, v0
	v_addc_co_u32_e32 v6, vcc, v7, v1, vcc
	v_lshlrev_b64 v[0:1], 3, v[2:3]
	s_mul_i32 s0, s13, 0xa9
	s_mul_hi_u32 s1, s12, 0xa9
	v_add_co_u32_e32 v0, vcc, v5, v0
	s_waitcnt lgkmcnt(0)
	v_mov_b32_e32 v2, s15
	v_add_co_u32_e64 v72, s[2:3], s14, v19
	s_add_i32 s1, s1, s0
	s_mul_i32 s0, s12, 0xa9
	v_addc_co_u32_e32 v1, vcc, v6, v1, vcc
	v_addc_co_u32_e64 v73, vcc, 0, v2, s[2:3]
	s_lshl_b64 s[16:17], s[0:1], 3
	global_load_dwordx2 v[5:6], v[0:1], off
	v_mov_b32_e32 v17, s17
	v_add_co_u32_e32 v0, vcc, s16, v0
	v_addc_co_u32_e32 v1, vcc, v1, v17, vcc
	global_load_dwordx2 v[7:8], v[0:1], off
	v_add_co_u32_e32 v0, vcc, s16, v0
	v_addc_co_u32_e32 v1, vcc, v1, v17, vcc
	v_add_co_u32_e32 v2, vcc, s16, v0
	v_addc_co_u32_e32 v3, vcc, v1, v17, vcc
	;; [unrolled: 2-line block ×3, first 2 shown]
	s_movk_i32 s0, 0x1000
	global_load_dwordx2 v[87:88], v19, s[14:15]
	global_load_dwordx2 v[85:86], v19, s[14:15] offset:1352
	global_load_dwordx2 v[83:84], v19, s[14:15] offset:2704
	;; [unrolled: 1-line block ×3, first 2 shown]
	global_load_dwordx2 v[11:12], v[0:1], off
	global_load_dwordx2 v[13:14], v[2:3], off
	;; [unrolled: 1-line block ×3, first 2 shown]
	v_add_co_u32_e32 v0, vcc, s0, v72
	v_addc_co_u32_e32 v1, vcc, 0, v73, vcc
	v_add_co_u32_e32 v2, vcc, s16, v9
	global_load_dwordx2 v[80:81], v[0:1], off offset:1312
	v_addc_co_u32_e32 v3, vcc, v10, v17, vcc
	global_load_dwordx2 v[9:10], v[2:3], off
	global_load_dwordx2 v[76:77], v[0:1], off offset:2664
	v_add_co_u32_e32 v2, vcc, s16, v2
	v_addc_co_u32_e32 v3, vcc, v3, v17, vcc
	global_load_dwordx2 v[74:75], v[0:1], off offset:4016
	global_load_dwordx2 v[17:18], v[2:3], off
	v_and_b32_e32 v4, 1, v4
	v_cmp_eq_u32_e32 vcc, 1, v4
	v_cndmask_b32_e32 v4, 0, v20, vcc
	v_lshlrev_b32_e32 v95, 3, v4
	v_add_u32_e32 v93, v95, v19
	v_add_u32_e32 v4, 0x800, v93
	s_load_dwordx4 s[8:11], s[10:11], 0x0
	s_movk_i32 s0, 0x4e
	v_cmp_gt_u16_e64 s[0:1], s0, v94
	s_waitcnt vmcnt(11)
	v_mul_f32_e32 v19, v6, v88
	v_mul_f32_e32 v20, v5, v88
	v_fmac_f32_e32 v19, v5, v87
	v_fma_f32 v20, v6, v87, -v20
	s_waitcnt vmcnt(10)
	v_mul_f32_e32 v5, v8, v86
	v_mul_f32_e32 v6, v7, v86
	v_fmac_f32_e32 v5, v7, v85
	v_fma_f32 v6, v8, v85, -v6
	s_waitcnt vmcnt(7)
	v_mul_f32_e32 v7, v12, v84
	v_mul_f32_e32 v8, v11, v84
	ds_write2_b64 v93, v[19:20], v[5:6] offset1:169
	s_waitcnt vmcnt(6)
	v_mul_f32_e32 v5, v14, v79
	v_mul_f32_e32 v6, v13, v79
	v_fmac_f32_e32 v7, v11, v83
	v_fma_f32 v8, v12, v83, -v8
	v_fmac_f32_e32 v5, v13, v78
	v_fma_f32 v6, v14, v78, -v6
	ds_write2_b64 v4, v[7:8], v[5:6] offset0:82 offset1:251
	s_waitcnt vmcnt(4)
	v_mul_f32_e32 v5, v15, v81
	v_mul_f32_e32 v6, v16, v81
	v_fma_f32 v7, v16, v80, -v5
	s_waitcnt vmcnt(2)
	v_mul_f32_e32 v8, v10, v77
	v_mul_f32_e32 v5, v9, v77
	v_fmac_f32_e32 v6, v15, v80
	v_fmac_f32_e32 v8, v9, v76
	v_fma_f32 v9, v10, v76, -v5
	v_add_u32_e32 v5, 0x1400, v93
	ds_write2_b64 v5, v[6:7], v[8:9] offset0:36 offset1:205
	s_waitcnt vmcnt(0)
	v_mul_f32_e32 v6, v18, v75
	v_mul_f32_e32 v7, v17, v75
	v_fmac_f32_e32 v6, v17, v74
	v_fma_f32 v7, v18, v74, -v7
	ds_write_b64 v93, v[6:7] offset:8112
	s_and_saveexec_b64 s[18:19], s[0:1]
	s_cbranch_execz .LBB0_3
; %bb.2:
	v_mov_b32_e32 v6, 0xffffe328
	v_mad_u64_u32 v[2:3], s[20:21], s12, v6, v[2:3]
	s_mulk_i32 s13, 0xe328
	s_sub_i32 s12, s13, s12
	v_add_u32_e32 v3, s12, v3
	global_load_dwordx2 v[6:7], v[2:3], off
	v_mov_b32_e32 v30, s17
	v_add_co_u32_e32 v2, vcc, s16, v2
	v_addc_co_u32_e32 v3, vcc, v3, v30, vcc
	global_load_dwordx2 v[8:9], v[2:3], off
	v_add_co_u32_e32 v2, vcc, s16, v2
	v_addc_co_u32_e32 v3, vcc, v3, v30, vcc
	global_load_dwordx2 v[10:11], v[2:3], off
	v_add_co_u32_e32 v2, vcc, s16, v2
	v_addc_co_u32_e32 v3, vcc, v3, v30, vcc
	global_load_dwordx2 v[12:13], v[2:3], off
	global_load_dwordx2 v[14:15], v[72:73], off offset:728
	global_load_dwordx2 v[16:17], v[72:73], off offset:2080
	;; [unrolled: 1-line block ×4, first 2 shown]
	v_add_co_u32_e32 v2, vcc, s16, v2
	v_addc_co_u32_e32 v3, vcc, v3, v30, vcc
	global_load_dwordx2 v[22:23], v[2:3], off
	v_add_co_u32_e32 v2, vcc, s16, v2
	v_addc_co_u32_e32 v3, vcc, v3, v30, vcc
	global_load_dwordx2 v[24:25], v[2:3], off
	global_load_dwordx2 v[26:27], v[0:1], off offset:2040
	global_load_dwordx2 v[28:29], v[0:1], off offset:3392
	v_add_co_u32_e32 v0, vcc, s16, v2
	v_addc_co_u32_e32 v1, vcc, v3, v30, vcc
	v_add_co_u32_e32 v2, vcc, 0x2000, v72
	v_addc_co_u32_e32 v3, vcc, 0, v73, vcc
	global_load_dwordx2 v[30:31], v[2:3], off offset:648
	global_load_dwordx2 v[32:33], v[0:1], off
	v_add_u32_e32 v34, 0x200, v93
	v_add_u32_e32 v35, 0xc00, v93
	;; [unrolled: 1-line block ×3, first 2 shown]
	s_waitcnt vmcnt(9)
	v_mul_f32_e32 v0, v7, v15
	v_mul_f32_e32 v1, v6, v15
	s_waitcnt vmcnt(8)
	v_mul_f32_e32 v2, v9, v17
	v_mul_f32_e32 v3, v8, v17
	v_fmac_f32_e32 v0, v6, v14
	v_fma_f32 v1, v7, v14, -v1
	v_fmac_f32_e32 v2, v8, v16
	v_fma_f32 v3, v9, v16, -v3
	s_waitcnt vmcnt(7)
	v_mul_f32_e32 v6, v11, v19
	v_mul_f32_e32 v7, v10, v19
	ds_write2_b64 v34, v[0:1], v[2:3] offset0:27 offset1:196
	s_waitcnt vmcnt(6)
	v_mul_f32_e32 v0, v13, v21
	v_mul_f32_e32 v1, v12, v21
	v_fmac_f32_e32 v6, v10, v18
	v_fma_f32 v7, v11, v18, -v7
	v_fmac_f32_e32 v0, v12, v20
	v_fma_f32 v1, v13, v20, -v1
	s_waitcnt vmcnt(3)
	v_mul_f32_e32 v2, v23, v27
	v_mul_f32_e32 v3, v22, v27
	ds_write2_b64 v35, v[6:7], v[0:1] offset0:45 offset1:214
	s_waitcnt vmcnt(2)
	v_mul_f32_e32 v0, v25, v29
	v_mul_f32_e32 v1, v24, v29
	s_waitcnt vmcnt(0)
	v_mul_f32_e32 v6, v33, v31
	v_mul_f32_e32 v7, v32, v31
	v_fmac_f32_e32 v2, v22, v26
	v_fma_f32 v3, v23, v26, -v3
	v_fmac_f32_e32 v0, v24, v28
	v_fma_f32 v1, v25, v28, -v1
	;; [unrolled: 2-line block ×3, first 2 shown]
	ds_write2_b64 v36, v[2:3], v[0:1] offset0:63 offset1:232
	ds_write_b64 v93, v[6:7] offset:8840
.LBB0_3:
	s_or_b64 exec, exec, s[18:19]
	s_waitcnt lgkmcnt(0)
	s_barrier
	ds_read2_b64 v[12:15], v93 offset1:169
	ds_read2_b64 v[16:19], v4 offset0:82 offset1:251
	ds_read2_b64 v[20:23], v5 offset0:36 offset1:205
	ds_read_b64 v[26:27], v93 offset:8112
	s_load_dwordx2 s[4:5], s[4:5], 0x8
	v_mov_b32_e32 v2, 0
	v_mov_b32_e32 v3, 0
	;; [unrolled: 1-line block ×8, first 2 shown]
                                        ; implicit-def: $vgpr24
	s_and_saveexec_b64 s[12:13], s[0:1]
	s_cbranch_execz .LBB0_5
; %bb.4:
	v_add_u32_e32 v0, 0x200, v93
	v_add_u32_e32 v4, 0xc00, v93
	;; [unrolled: 1-line block ×3, first 2 shown]
	ds_read2_b64 v[0:3], v0 offset0:27 offset1:196
	ds_read2_b64 v[4:7], v4 offset0:45 offset1:214
	;; [unrolled: 1-line block ×3, first 2 shown]
	ds_read_b64 v[24:25], v93 offset:8840
.LBB0_5:
	s_or_b64 exec, exec, s[12:13]
	s_waitcnt lgkmcnt(0)
	v_add_f32_e32 v28, v14, v26
	v_sub_f32_e32 v14, v14, v26
	v_add_f32_e32 v26, v16, v22
	v_add_f32_e32 v29, v15, v27
	v_sub_f32_e32 v15, v15, v27
	v_add_f32_e32 v27, v17, v23
	v_sub_f32_e32 v16, v16, v22
	;; [unrolled: 2-line block ×6, first 2 shown]
	v_sub_f32_e32 v32, v28, v22
	v_add_f32_e32 v28, v18, v16
	v_add_f32_e32 v20, v22, v20
	v_sub_f32_e32 v31, v27, v29
	v_sub_f32_e32 v33, v29, v23
	v_add_f32_e32 v29, v19, v17
	v_sub_f32_e32 v34, v18, v16
	v_sub_f32_e32 v18, v14, v18
	;; [unrolled: 1-line block ×3, first 2 shown]
	v_add_f32_e32 v21, v23, v21
	v_add_f32_e32 v14, v28, v14
	v_add_f32_e32 v28, v12, v20
	v_sub_f32_e32 v26, v22, v26
	v_sub_f32_e32 v27, v23, v27
	;; [unrolled: 1-line block ×5, first 2 shown]
	v_add_f32_e32 v15, v29, v15
	v_add_f32_e32 v29, v13, v21
	v_mul_f32_e32 v41, 0xbf08b237, v34
	v_mov_b32_e32 v34, v28
	v_mul_f32_e32 v12, 0x3f4a47b2, v32
	v_mul_f32_e32 v13, 0x3f4a47b2, v33
	;; [unrolled: 1-line block ×5, first 2 shown]
	s_mov_b32 s14, 0x3f5ff5aa
	v_fmac_f32_e32 v34, 0xbf955555, v20
	v_mov_b32_e32 v20, v29
	s_mov_b32 s16, 0x3f3bfb3b
	s_mov_b32 s17, 0xbf3bfb3b
	v_mul_f32_e32 v32, 0x3f5ff5aa, v16
	v_mul_f32_e32 v33, 0x3f5ff5aa, v17
	v_fmac_f32_e32 v20, 0xbf955555, v21
	v_fma_f32 v21, v30, s16, -v22
	v_fma_f32 v22, v31, s16, -v23
	;; [unrolled: 1-line block ×3, first 2 shown]
	v_fmac_f32_e32 v12, 0x3d64c772, v26
	v_fma_f32 v26, v31, s17, -v13
	v_fmac_f32_e32 v13, 0x3d64c772, v27
	v_fma_f32 v16, v16, s14, -v41
	;; [unrolled: 2-line block ×3, first 2 shown]
	v_fmac_f32_e32 v40, 0x3eae86e6, v19
	s_mov_b32 s12, 0xbeae86e6
	v_fma_f32 v18, v18, s12, -v32
	v_fma_f32 v19, v19, s12, -v33
	v_add_f32_e32 v12, v12, v34
	v_add_f32_e32 v13, v13, v20
	v_fmac_f32_e32 v41, 0x3ee1c552, v14
	v_fmac_f32_e32 v40, 0x3ee1c552, v15
	;; [unrolled: 1-line block ×6, first 2 shown]
	v_add_f32_e32 v30, v12, v40
	v_sub_f32_e32 v31, v13, v41
	v_sub_f32_e32 v40, v12, v40
	v_add_f32_e32 v41, v41, v13
	v_add_f32_e32 v12, v24, v2
	;; [unrolled: 1-line block ×3, first 2 shown]
	v_sub_f32_e32 v15, v2, v24
	v_sub_f32_e32 v2, v3, v25
	v_add_f32_e32 v3, v10, v4
	v_add_f32_e32 v14, v11, v5
	v_sub_f32_e32 v10, v4, v10
	v_sub_f32_e32 v4, v5, v11
	v_add_f32_e32 v5, v6, v8
	v_add_f32_e32 v11, v7, v9
	;; [unrolled: 4-line block ×3, first 2 shown]
	v_add_f32_e32 v21, v21, v34
	v_add_f32_e32 v22, v22, v20
	;; [unrolled: 1-line block ×6, first 2 shown]
	v_sub_f32_e32 v33, v20, v18
	v_sub_f32_e32 v34, v21, v17
	v_add_f32_e32 v35, v16, v22
	v_add_f32_e32 v36, v17, v21
	v_sub_f32_e32 v37, v22, v16
	v_add_f32_e32 v39, v18, v20
	v_sub_f32_e32 v16, v5, v3
	v_sub_f32_e32 v17, v11, v14
	;; [unrolled: 1-line block ×4, first 2 shown]
	v_add_f32_e32 v0, v8, v0
	v_add_f32_e32 v1, v9, v1
	v_add_f32_e32 v32, v19, v23
	v_sub_f32_e32 v38, v23, v19
	v_sub_f32_e32 v22, v12, v5
	;; [unrolled: 1-line block ×3, first 2 shown]
	v_add_f32_e32 v18, v10, v6
	v_add_f32_e32 v19, v4, v7
	v_sub_f32_e32 v24, v15, v6
	v_sub_f32_e32 v25, v2, v7
	v_mul_f32_e32 v5, 0x3d64c772, v16
	v_mul_f32_e32 v16, 0x3d64c772, v17
	;; [unrolled: 1-line block ×4, first 2 shown]
	v_mov_b32_e32 v6, v0
	v_mov_b32_e32 v21, v1
	v_add_f32_e32 v26, v15, v18
	v_fmac_f32_e32 v6, 0xbf955555, v8
	v_fmac_f32_e32 v21, 0xbf955555, v9
	v_mov_b32_e32 v17, v5
	v_mov_b32_e32 v18, v16
	;; [unrolled: 1-line block ×4, first 2 shown]
	v_add_f32_e32 v27, v2, v19
	v_fmac_f32_e32 v17, 0x3f4a47b2, v22
	v_fmac_f32_e32 v18, 0x3f4a47b2, v23
	;; [unrolled: 1-line block ×4, first 2 shown]
	v_add_co_u32_e32 v42, vcc, 0x5b, v94
	v_add_f32_e32 v17, v17, v6
	v_add_f32_e32 v20, v18, v21
	v_fmac_f32_e32 v8, 0x3ee1c552, v26
	v_fmac_f32_e32 v9, 0x3ee1c552, v27
	v_mul_lo_u16_e32 v43, 7, v94
	v_sub_f32_e32 v18, v17, v9
	v_add_f32_e32 v19, v8, v20
	v_lshl_add_u32 v97, v43, 3, v95
	v_mul_u32_u24_e32 v96, 7, v42
	s_barrier
	ds_write2_b64 v97, v[28:29], v[30:31] offset1:1
	ds_write2_b64 v97, v[32:33], v[34:35] offset0:2 offset1:3
	ds_write2_b64 v97, v[36:37], v[38:39] offset0:4 offset1:5
	ds_write_b64 v97, v[40:41] offset:48
	s_and_saveexec_b64 s[12:13], s[0:1]
	s_cbranch_execz .LBB0_7
; %bb.6:
	v_mul_f32_e32 v24, 0x3eae86e6, v24
	v_sub_f32_e32 v10, v10, v15
	s_mov_b32 s18, 0xbf5ff5aa
	v_mul_f32_e32 v22, 0x3f4a47b2, v22
	v_fma_f32 v15, v10, s18, -v24
	v_sub_f32_e32 v24, v3, v12
	v_mul_f32_e32 v25, 0x3eae86e6, v25
	v_fma_f32 v3, v24, s17, -v22
	v_sub_f32_e32 v2, v4, v2
	v_mul_f32_e32 v27, 0x3ee1c552, v27
	v_sub_f32_e32 v14, v14, v13
	v_add_f32_e32 v22, v3, v6
	v_fma_f32 v3, v2, s18, -v25
	v_add_f32_e32 v25, v3, v27
	v_fma_f32 v3, v14, s16, -v16
	v_mul_f32_e32 v23, 0x3f4a47b2, v23
	v_mul_f32_e32 v26, 0x3ee1c552, v26
	v_add_f32_e32 v4, v3, v21
	v_fma_f32 v3, v10, s14, -v11
	v_fma_f32 v2, v2, s14, -v7
	;; [unrolled: 1-line block ×3, first 2 shown]
	v_add_f32_e32 v10, v3, v26
	v_add_f32_e32 v7, v2, v27
	v_fma_f32 v2, v24, s16, -v5
	v_add_f32_e32 v15, v15, v26
	v_add_f32_e32 v23, v13, v21
	v_sub_f32_e32 v3, v4, v10
	v_add_f32_e32 v6, v2, v6
	v_add_f32_e32 v5, v10, v4
	v_sub_f32_e32 v10, v20, v8
	v_add_f32_e32 v9, v17, v9
	v_lshl_add_u32 v8, v96, 3, v95
	v_add_f32_e32 v13, v15, v23
	v_sub_f32_e32 v12, v22, v25
	v_add_f32_e32 v2, v6, v7
	v_sub_f32_e32 v4, v6, v7
	v_sub_f32_e32 v7, v23, v15
	v_add_f32_e32 v6, v22, v25
	ds_write2_b64 v8, v[0:1], v[9:10] offset1:1
	ds_write2_b64 v8, v[6:7], v[4:5] offset0:2 offset1:3
	ds_write2_b64 v8, v[2:3], v[12:13] offset0:4 offset1:5
	ds_write_b64 v8, v[18:19] offset:48
.LBB0_7:
	s_or_b64 exec, exec, s[12:13]
	v_mov_b32_e32 v0, 37
	v_mul_lo_u16_sdwa v0, v94, v0 dst_sel:DWORD dst_unused:UNUSED_PAD src0_sel:BYTE_0 src1_sel:DWORD
	v_sub_u16_sdwa v1, v94, v0 dst_sel:DWORD dst_unused:UNUSED_PAD src0_sel:DWORD src1_sel:BYTE_1
	v_lshrrev_b16_e32 v1, 1, v1
	v_and_b32_e32 v1, 0x7f, v1
	v_add_u16_sdwa v0, v1, v0 dst_sel:DWORD dst_unused:UNUSED_PAD src0_sel:DWORD src1_sel:BYTE_1
	v_lshrrev_b16_e32 v17, 2, v0
	v_mul_lo_u16_e32 v0, 7, v17
	v_sub_u16_e32 v28, v94, v0
	v_mov_b32_e32 v0, 12
	v_mul_u32_u24_sdwa v0, v28, v0 dst_sel:DWORD dst_unused:UNUSED_PAD src0_sel:BYTE_0 src1_sel:DWORD
	v_lshlrev_b32_e32 v16, 3, v0
	s_waitcnt lgkmcnt(0)
	s_barrier
	global_load_dwordx4 v[20:23], v16, s[4:5]
	global_load_dwordx4 v[8:11], v16, s[4:5] offset:16
	global_load_dwordx4 v[4:7], v16, s[4:5] offset:32
	;; [unrolled: 1-line block ×5, first 2 shown]
	ds_read2_b64 v[29:32], v93 offset1:91
	ds_read_b64 v[53:54], v93 offset:8736
	v_add_u32_e32 v16, 0x400, v93
	v_add_u32_e32 v64, 0x800, v93
	;; [unrolled: 1-line block ×5, first 2 shown]
	ds_read2_b64 v[33:36], v16 offset0:54 offset1:145
	ds_read2_b64 v[37:40], v64 offset0:108 offset1:199
	;; [unrolled: 1-line block ×5, first 2 shown]
	s_mov_b32 s12, 0x3f62ad3f
	s_mov_b32 s13, 0x3f116cb1
	;; [unrolled: 1-line block ×6, first 2 shown]
	v_mul_u32_u24_e32 v17, 0x5b, v17
	v_add_u32_sdwa v17, v17, v28 dst_sel:DWORD dst_unused:UNUSED_PAD src0_sel:DWORD src1_sel:BYTE_0
	s_waitcnt vmcnt(0) lgkmcnt(0)
	s_barrier
	s_movk_i32 s19, 0x60
	v_mul_f32_e32 v56, v31, v21
	v_mul_f32_e32 v55, v32, v21
	;; [unrolled: 1-line block ×4, first 2 shown]
	v_fmac_f32_e32 v56, v32, v20
	v_mul_f32_e32 v104, v53, v15
	v_mul_f32_e32 v103, v54, v15
	v_fmac_f32_e32 v104, v54, v14
	v_mul_f32_e32 v62, v35, v9
	v_mul_f32_e32 v65, v37, v11
	;; [unrolled: 1-line block ×9, first 2 shown]
	v_fmac_f32_e32 v70, v42, v6
	v_fmac_f32_e32 v89, v44, v0
	v_fma_f32 v31, v31, v20, -v55
	v_fma_f32 v42, v53, v14, -v103
	v_sub_f32_e32 v44, v56, v104
	v_mul_f32_e32 v57, v34, v23
	v_mul_f32_e32 v58, v33, v23
	;; [unrolled: 1-line block ×9, first 2 shown]
	v_fmac_f32_e32 v62, v36, v8
	v_fmac_f32_e32 v65, v38, v10
	v_fma_f32 v36, v39, v4, -v66
	v_fma_f32 v38, v43, v0, -v71
	;; [unrolled: 1-line block ×3, first 2 shown]
	v_fmac_f32_e32 v91, v46, v2
	v_fma_f32 v39, v47, v24, -v92
	v_fmac_f32_e32 v98, v48, v24
	v_add_f32_e32 v43, v31, v42
	v_mul_f32_e32 v45, 0xbeedf032, v44
	v_mul_f32_e32 v46, 0xbf52af12, v44
	;; [unrolled: 1-line block ×6, first 2 shown]
	v_fma_f32 v33, v33, v22, -v57
	v_fmac_f32_e32 v58, v34, v22
	v_fma_f32 v34, v35, v8, -v59
	v_fma_f32 v35, v37, v10, -v63
	v_fmac_f32_e32 v67, v40, v4
	v_fma_f32 v37, v41, v6, -v69
	;; [unrolled: 3-line block ×3, first 2 shown]
	v_fmac_f32_e32 v102, v52, v12
	v_fma_f32 v49, v43, s12, -v45
	v_fmac_f32_e32 v45, 0x3f62ad3f, v43
	v_fma_f32 v50, v43, s13, -v46
	v_fmac_f32_e32 v46, 0x3f116cb1, v43
	v_fma_f32 v51, v43, s14, -v47
	v_fmac_f32_e32 v47, 0x3df6dbef, v43
	v_fma_f32 v52, v43, s16, -v48
	v_fmac_f32_e32 v48, 0xbeb58ec6, v43
	v_fma_f32 v54, v43, s17, -v53
	v_fmac_f32_e32 v53, 0xbf3f9e67, v43
	v_fma_f32 v55, v43, s18, -v44
	v_fmac_f32_e32 v44, 0xbf788fa5, v43
	v_sub_f32_e32 v57, v31, v42
	v_add_f32_e32 v31, v29, v31
	v_add_f32_e32 v49, v29, v49
	;; [unrolled: 1-line block ×15, first 2 shown]
	v_mul_f32_e32 v59, 0xbeedf032, v57
	v_mul_f32_e32 v66, 0xbf52af12, v57
	;; [unrolled: 1-line block ×6, first 2 shown]
	v_add_f32_e32 v29, v29, v35
	v_add_f32_e32 v43, v56, v104
	v_mov_b32_e32 v63, v59
	v_mov_b32_e32 v69, v66
	;; [unrolled: 1-line block ×6, first 2 shown]
	v_add_f32_e32 v29, v29, v36
	v_fmac_f32_e32 v63, 0x3f62ad3f, v43
	v_fma_f32 v59, v43, s12, -v59
	v_fmac_f32_e32 v69, 0x3f116cb1, v43
	v_fma_f32 v66, v43, s13, -v66
	;; [unrolled: 2-line block ×6, first 2 shown]
	v_add_f32_e32 v56, v30, v56
	v_add_f32_e32 v29, v29, v37
	;; [unrolled: 1-line block ×26, first 2 shown]
	v_sub_f32_e32 v42, v58, v102
	v_add_f32_e32 v30, v30, v91
	v_add_f32_e32 v31, v33, v41
	v_mul_f32_e32 v56, 0xbf52af12, v42
	v_add_f32_e32 v30, v30, v98
	v_sub_f32_e32 v33, v33, v41
	v_add_f32_e32 v41, v58, v102
	v_fma_f32 v58, v31, s13, -v56
	v_add_f32_e32 v30, v30, v100
	v_add_f32_e32 v49, v58, v49
	v_mul_f32_e32 v58, 0xbf52af12, v33
	v_fmac_f32_e32 v56, 0x3f116cb1, v31
	v_add_f32_e32 v30, v30, v102
	v_mov_b32_e32 v102, v58
	v_add_f32_e32 v45, v56, v45
	v_fma_f32 v56, v41, s13, -v58
	v_mul_f32_e32 v58, 0xbf6f5d39, v42
	v_add_f32_e32 v56, v56, v59
	v_fma_f32 v59, v31, s16, -v58
	v_fmac_f32_e32 v102, 0x3f116cb1, v41
	v_add_f32_e32 v50, v59, v50
	v_mul_f32_e32 v59, 0xbf6f5d39, v33
	v_fmac_f32_e32 v58, 0xbeb58ec6, v31
	v_add_f32_e32 v57, v102, v57
	v_mov_b32_e32 v102, v59
	v_add_f32_e32 v46, v58, v46
	v_fma_f32 v58, v41, s16, -v59
	v_mul_f32_e32 v59, 0xbe750f2a, v42
	v_add_f32_e32 v58, v58, v66
	v_fma_f32 v66, v31, s18, -v59
	v_fmac_f32_e32 v102, 0xbeb58ec6, v41
	v_add_f32_e32 v51, v66, v51
	v_mul_f32_e32 v66, 0xbe750f2a, v33
	v_fmac_f32_e32 v59, 0xbf788fa5, v31
	v_add_f32_e32 v63, v102, v63
	v_mov_b32_e32 v102, v66
	v_add_f32_e32 v47, v59, v47
	v_fma_f32 v59, v41, s18, -v66
	v_mul_f32_e32 v66, 0x3f29c268, v42
	v_add_f32_e32 v59, v59, v71
	v_fma_f32 v71, v31, s17, -v66
	v_fmac_f32_e32 v102, 0xbf788fa5, v41
	v_add_f32_e32 v52, v71, v52
	v_mul_f32_e32 v71, 0x3f29c268, v33
	v_fmac_f32_e32 v66, 0xbf3f9e67, v31
	v_add_f32_e32 v69, v102, v69
	v_mov_b32_e32 v102, v71
	v_add_f32_e32 v48, v66, v48
	v_fma_f32 v66, v41, s17, -v71
	v_mul_f32_e32 v71, 0x3f7e222b, v42
	v_add_f32_e32 v66, v66, v92
	v_fma_f32 v92, v31, s14, -v71
	v_fmac_f32_e32 v102, 0xbf3f9e67, v41
	v_add_f32_e32 v54, v92, v54
	v_mul_f32_e32 v92, 0x3f7e222b, v33
	v_fmac_f32_e32 v71, 0x3df6dbef, v31
	v_mul_f32_e32 v42, 0x3eedf032, v42
	v_add_f32_e32 v90, v102, v90
	v_mov_b32_e32 v102, v92
	v_add_f32_e32 v53, v71, v53
	v_fma_f32 v71, v41, s14, -v92
	v_fma_f32 v92, v31, s12, -v42
	v_mul_f32_e32 v33, 0x3eedf032, v33
	v_fmac_f32_e32 v42, 0x3f62ad3f, v31
	v_add_f32_e32 v55, v92, v55
	v_mov_b32_e32 v92, v33
	v_add_f32_e32 v31, v42, v44
	v_fma_f32 v33, v41, s12, -v33
	v_sub_f32_e32 v42, v62, v100
	v_fmac_f32_e32 v102, 0x3df6dbef, v41
	v_fmac_f32_e32 v92, 0x3f62ad3f, v41
	v_add_f32_e32 v33, v33, v43
	v_add_f32_e32 v41, v34, v40
	v_mul_f32_e32 v43, 0xbf7e222b, v42
	v_sub_f32_e32 v34, v34, v40
	v_fma_f32 v44, v41, s14, -v43
	v_add_f32_e32 v40, v62, v100
	v_add_f32_e32 v44, v44, v49
	v_mul_f32_e32 v49, 0xbf7e222b, v34
	v_fmac_f32_e32 v43, 0x3df6dbef, v41
	v_mov_b32_e32 v62, v49
	v_add_f32_e32 v43, v43, v45
	v_fma_f32 v45, v40, s14, -v49
	v_mul_f32_e32 v49, 0xbe750f2a, v42
	v_add_f32_e32 v45, v45, v56
	v_fma_f32 v56, v41, s18, -v49
	v_fmac_f32_e32 v62, 0x3df6dbef, v40
	v_add_f32_e32 v50, v56, v50
	v_mul_f32_e32 v56, 0xbe750f2a, v34
	v_fmac_f32_e32 v49, 0xbf788fa5, v41
	v_add_f32_e32 v57, v62, v57
	v_mov_b32_e32 v62, v56
	v_add_f32_e32 v46, v49, v46
	v_fma_f32 v49, v40, s18, -v56
	v_mul_f32_e32 v56, 0x3f6f5d39, v42
	v_add_f32_e32 v49, v49, v58
	v_fma_f32 v58, v41, s16, -v56
	v_fmac_f32_e32 v62, 0xbf788fa5, v40
	v_add_f32_e32 v51, v58, v51
	v_mul_f32_e32 v58, 0x3f6f5d39, v34
	v_fmac_f32_e32 v56, 0xbeb58ec6, v41
	v_add_f32_e32 v62, v62, v63
	;; [unrolled: 11-line block ×3, first 2 shown]
	v_mov_b32_e32 v69, v59
	v_add_f32_e32 v48, v58, v48
	v_fma_f32 v58, v40, s12, -v59
	v_mul_f32_e32 v59, 0xbf52af12, v42
	v_add_f32_e32 v58, v58, v66
	v_fma_f32 v66, v41, s13, -v59
	v_fmac_f32_e32 v69, 0x3f62ad3f, v40
	v_add_f32_e32 v54, v66, v54
	v_mul_f32_e32 v66, 0xbf52af12, v34
	v_fmac_f32_e32 v59, 0x3f116cb1, v41
	v_mul_f32_e32 v42, 0xbf29c268, v42
	v_add_f32_e32 v69, v69, v90
	v_mov_b32_e32 v90, v66
	v_add_f32_e32 v53, v59, v53
	v_fma_f32 v59, v40, s13, -v66
	v_fma_f32 v66, v41, s17, -v42
	v_mul_f32_e32 v34, 0xbf29c268, v34
	v_add_f32_e32 v55, v66, v55
	v_mov_b32_e32 v66, v34
	v_fma_f32 v34, v40, s17, -v34
	v_add_f32_e32 v33, v34, v33
	v_add_f32_e32 v34, v35, v39
	v_sub_f32_e32 v35, v35, v39
	v_sub_f32_e32 v39, v65, v98
	v_fmac_f32_e32 v42, 0xbf3f9e67, v41
	v_mul_f32_e32 v41, 0xbf6f5d39, v39
	v_add_f32_e32 v31, v42, v31
	v_fma_f32 v42, v34, s16, -v41
	v_fmac_f32_e32 v90, 0x3f116cb1, v40
	v_fmac_f32_e32 v66, 0xbf3f9e67, v40
	v_add_f32_e32 v40, v65, v98
	v_add_f32_e32 v42, v42, v44
	v_mul_f32_e32 v44, 0xbf6f5d39, v35
	v_fmac_f32_e32 v41, 0xbeb58ec6, v34
	v_mov_b32_e32 v65, v44
	v_add_f32_e32 v41, v41, v43
	v_fma_f32 v43, v40, s16, -v44
	v_mul_f32_e32 v44, 0x3f29c268, v39
	v_add_f32_e32 v43, v43, v45
	v_fma_f32 v45, v34, s17, -v44
	v_add_f32_e32 v45, v45, v50
	v_mul_f32_e32 v50, 0x3f29c268, v35
	v_fmac_f32_e32 v44, 0xbf3f9e67, v34
	v_add_f32_e32 v44, v44, v46
	v_fma_f32 v46, v40, s17, -v50
	v_fmac_f32_e32 v65, 0xbeb58ec6, v40
	v_add_f32_e32 v46, v46, v49
	v_mul_f32_e32 v49, 0x3eedf032, v39
	v_add_f32_e32 v57, v65, v57
	v_mov_b32_e32 v65, v50
	v_fma_f32 v50, v34, s12, -v49
	v_fmac_f32_e32 v65, 0xbf3f9e67, v40
	v_add_f32_e32 v50, v50, v51
	v_mul_f32_e32 v51, 0x3eedf032, v35
	v_fmac_f32_e32 v49, 0x3f62ad3f, v34
	v_add_f32_e32 v62, v65, v62
	v_mov_b32_e32 v65, v51
	v_add_f32_e32 v47, v49, v47
	v_fma_f32 v49, v40, s12, -v51
	v_mul_f32_e32 v51, 0xbf7e222b, v39
	v_add_f32_e32 v49, v49, v56
	v_fma_f32 v56, v34, s14, -v51
	v_fmac_f32_e32 v65, 0x3f62ad3f, v40
	v_add_f32_e32 v52, v56, v52
	v_mul_f32_e32 v56, 0xbf7e222b, v35
	v_fmac_f32_e32 v51, 0x3df6dbef, v34
	v_add_f32_e32 v63, v65, v63
	v_mov_b32_e32 v65, v56
	v_add_f32_e32 v48, v51, v48
	v_fma_f32 v51, v40, s14, -v56
	v_mul_f32_e32 v56, 0x3e750f2a, v39
	v_add_f32_e32 v51, v51, v58
	v_fma_f32 v58, v34, s18, -v56
	v_fmac_f32_e32 v65, 0x3df6dbef, v40
	v_add_f32_e32 v54, v58, v54
	v_mul_f32_e32 v58, 0x3e750f2a, v35
	v_fmac_f32_e32 v56, 0xbf788fa5, v34
	v_mul_f32_e32 v39, 0x3f52af12, v39
	v_mul_f32_e32 v35, 0x3f52af12, v35
	v_add_f32_e32 v65, v65, v69
	v_mov_b32_e32 v69, v58
	v_add_f32_e32 v53, v56, v53
	v_fma_f32 v56, v40, s18, -v58
	v_fma_f32 v58, v34, s13, -v39
	v_fmac_f32_e32 v39, 0x3f116cb1, v34
	v_fma_f32 v34, v40, s13, -v35
	v_add_f32_e32 v33, v34, v33
	v_add_f32_e32 v34, v36, v32
	v_sub_f32_e32 v32, v36, v32
	v_sub_f32_e32 v36, v67, v91
	v_add_f32_e32 v55, v58, v55
	v_mov_b32_e32 v58, v35
	v_add_f32_e32 v31, v39, v31
	v_mul_f32_e32 v39, 0xbf29c268, v36
	v_add_f32_e32 v71, v71, v101
	v_fmac_f32_e32 v69, 0xbf788fa5, v40
	v_fmac_f32_e32 v58, 0x3f116cb1, v40
	v_fma_f32 v40, v34, s17, -v39
	v_add_f32_e32 v59, v59, v71
	v_add_f32_e32 v35, v67, v91
	;; [unrolled: 1-line block ×3, first 2 shown]
	v_mul_f32_e32 v42, 0xbf29c268, v32
	v_fmac_f32_e32 v39, 0xbf3f9e67, v34
	v_add_f32_e32 v56, v56, v59
	v_mov_b32_e32 v59, v42
	v_add_f32_e32 v39, v39, v41
	v_fma_f32 v41, v35, s17, -v42
	v_mul_f32_e32 v42, 0x3f7e222b, v36
	v_add_f32_e32 v41, v41, v43
	v_fma_f32 v43, v34, s14, -v42
	v_fmac_f32_e32 v59, 0xbf3f9e67, v35
	v_add_f32_e32 v43, v43, v45
	v_mul_f32_e32 v45, 0x3f7e222b, v32
	v_fmac_f32_e32 v42, 0x3df6dbef, v34
	v_add_f32_e32 v57, v59, v57
	v_mov_b32_e32 v59, v45
	v_add_f32_e32 v42, v42, v44
	v_fma_f32 v44, v35, s14, -v45
	v_mul_f32_e32 v45, 0xbf52af12, v36
	v_add_f32_e32 v44, v44, v46
	v_fma_f32 v46, v34, s13, -v45
	v_add_f32_e32 v46, v46, v50
	v_mul_f32_e32 v50, 0xbf52af12, v32
	v_fmac_f32_e32 v45, 0x3f116cb1, v34
	v_add_f32_e32 v45, v45, v47
	v_fma_f32 v47, v35, s13, -v50
	v_fmac_f32_e32 v59, 0x3df6dbef, v35
	v_add_f32_e32 v47, v47, v49
	v_mul_f32_e32 v49, 0x3e750f2a, v36
	v_add_f32_e32 v59, v59, v62
	v_mov_b32_e32 v62, v50
	v_fma_f32 v50, v34, s18, -v49
	v_add_f32_e32 v50, v50, v52
	v_mul_f32_e32 v52, 0x3e750f2a, v32
	v_fmac_f32_e32 v49, 0xbf788fa5, v34
	v_add_f32_e32 v48, v49, v48
	v_fma_f32 v49, v35, s18, -v52
	v_fmac_f32_e32 v62, 0x3f116cb1, v35
	v_add_f32_e32 v49, v49, v51
	v_mul_f32_e32 v51, 0x3eedf032, v36
	v_add_f32_e32 v62, v62, v63
	v_mov_b32_e32 v63, v52
	v_fma_f32 v52, v34, s12, -v51
	v_add_f32_e32 v99, v102, v99
	v_fmac_f32_e32 v63, 0xbf788fa5, v35
	v_add_f32_e32 v52, v52, v54
	v_mul_f32_e32 v54, 0x3eedf032, v32
	v_add_f32_e32 v90, v90, v99
	v_add_f32_e32 v63, v63, v65
	v_mov_b32_e32 v65, v54
	v_fmac_f32_e32 v51, 0x3f62ad3f, v34
	v_mul_f32_e32 v36, 0xbf6f5d39, v36
	v_add_f32_e32 v92, v92, v103
	v_add_f32_e32 v69, v69, v90
	v_fmac_f32_e32 v65, 0x3f62ad3f, v35
	v_add_f32_e32 v51, v51, v53
	v_fma_f32 v53, v35, s12, -v54
	v_fma_f32 v54, v34, s16, -v36
	v_mul_f32_e32 v32, 0xbf6f5d39, v32
	v_add_f32_e32 v66, v66, v92
	v_add_f32_e32 v65, v65, v69
	v_add_f32_e32 v54, v54, v55
	v_mov_b32_e32 v55, v32
	v_fmac_f32_e32 v36, 0xbeb58ec6, v34
	v_sub_f32_e32 v69, v37, v38
	v_add_f32_e32 v58, v58, v66
	v_add_f32_e32 v53, v53, v56
	v_fmac_f32_e32 v55, 0xbeb58ec6, v35
	v_add_f32_e32 v56, v36, v31
	v_fma_f32 v31, v35, s16, -v32
	v_add_f32_e32 v67, v70, v89
	v_sub_f32_e32 v70, v70, v89
	v_mul_f32_e32 v34, 0xbe750f2a, v69
	v_add_f32_e32 v55, v55, v58
	v_add_f32_e32 v58, v31, v33
	;; [unrolled: 1-line block ×3, first 2 shown]
	v_mul_f32_e32 v33, 0xbe750f2a, v70
	v_mov_b32_e32 v32, v34
	v_fma_f32 v34, v67, s18, -v34
	v_fma_f32 v31, v66, s18, -v33
	v_fmac_f32_e32 v33, 0xbf788fa5, v66
	v_add_f32_e32 v34, v34, v41
	v_mul_f32_e32 v41, 0xbf29c268, v70
	v_add_f32_e32 v33, v33, v39
	v_mul_f32_e32 v37, 0x3eedf032, v70
	v_fma_f32 v39, v66, s17, -v41
	v_fmac_f32_e32 v41, 0xbf3f9e67, v66
	v_fma_f32 v35, v66, s12, -v37
	v_mul_f32_e32 v38, 0x3eedf032, v69
	v_add_f32_e32 v41, v41, v45
	v_mul_f32_e32 v45, 0x3f52af12, v70
	v_add_f32_e32 v35, v35, v43
	v_mov_b32_e32 v36, v38
	v_fmac_f32_e32 v37, 0x3f62ad3f, v66
	v_fma_f32 v38, v67, s12, -v38
	v_add_f32_e32 v39, v39, v46
	v_fma_f32 v43, v66, s13, -v45
	v_mul_f32_e32 v46, 0x3f52af12, v69
	v_add_f32_e32 v37, v37, v42
	v_add_f32_e32 v38, v38, v44
	v_mul_f32_e32 v42, 0xbf29c268, v69
	v_add_f32_e32 v43, v43, v50
	v_mov_b32_e32 v44, v46
	v_fmac_f32_e32 v45, 0x3f116cb1, v66
	v_fma_f32 v46, v67, s13, -v46
	v_mul_f32_e32 v50, 0xbf6f5d39, v69
	v_add_f32_e32 v31, v31, v40
	v_mov_b32_e32 v40, v42
	v_fma_f32 v42, v67, s17, -v42
	v_add_f32_e32 v45, v45, v48
	v_add_f32_e32 v46, v46, v49
	v_mul_f32_e32 v49, 0xbf6f5d39, v70
	v_mov_b32_e32 v48, v50
	v_fma_f32 v50, v67, s16, -v50
	v_add_f32_e32 v42, v42, v47
	v_fma_f32 v47, v66, s16, -v49
	v_fmac_f32_e32 v49, 0xbeb58ec6, v66
	v_add_f32_e32 v50, v50, v53
	v_mul_f32_e32 v53, 0x3f7e222b, v70
	v_add_f32_e32 v49, v49, v51
	v_fma_f32 v51, v66, s14, -v53
	v_add_f32_e32 v51, v51, v54
	v_mul_f32_e32 v54, 0x3f7e222b, v69
	v_fmac_f32_e32 v32, 0xbf788fa5, v67
	v_add_f32_e32 v47, v47, v52
	v_mov_b32_e32 v52, v54
	v_add_f32_e32 v30, v30, v104
	v_add_f32_e32 v32, v32, v57
	v_fmac_f32_e32 v36, 0x3f62ad3f, v67
	v_fmac_f32_e32 v40, 0xbf3f9e67, v67
	;; [unrolled: 1-line block ×6, first 2 shown]
	v_fma_f32 v54, v67, s14, -v54
	v_lshl_add_u32 v98, v17, 3, v95
	v_add_f32_e32 v36, v36, v59
	v_add_f32_e32 v40, v40, v62
	;; [unrolled: 1-line block ×7, first 2 shown]
	ds_write2_b64 v98, v[29:30], v[31:32] offset1:7
	ds_write2_b64 v98, v[35:36], v[39:40] offset0:14 offset1:21
	ds_write2_b64 v98, v[43:44], v[47:48] offset0:28 offset1:35
	;; [unrolled: 1-line block ×5, first 2 shown]
	ds_write_b64 v98, v[33:34] offset:672
	v_mov_b32_e32 v29, s5
	v_mov_b32_e32 v28, s4
	v_mad_u64_u32 v[52:53], s[4:5], v94, s19, v[28:29]
	s_waitcnt lgkmcnt(0)
	s_barrier
	global_load_dwordx4 v[40:43], v[52:53], off offset:672
	global_load_dwordx4 v[36:39], v[52:53], off offset:688
	;; [unrolled: 1-line block ×6, first 2 shown]
	ds_read2_b64 v[52:55], v16 offset0:54 offset1:145
	ds_read2_b64 v[56:59], v64 offset0:108 offset1:199
	;; [unrolled: 1-line block ×3, first 2 shown]
	s_movk_i32 s4, 0x1000
	s_waitcnt vmcnt(5) lgkmcnt(2)
	v_mul_f32_e32 v17, v53, v43
	v_fma_f32 v63, v52, v42, -v17
	v_mul_f32_e32 v66, v52, v43
	s_waitcnt vmcnt(4)
	v_mul_f32_e32 v17, v55, v37
	v_mul_f32_e32 v71, v54, v37
	v_fmac_f32_e32 v66, v53, v42
	v_fma_f32 v69, v54, v36, -v17
	v_fmac_f32_e32 v71, v55, v36
	s_waitcnt lgkmcnt(1)
	v_mul_f32_e32 v17, v57, v39
	ds_read2_b64 v[52:55], v68 offset0:88 offset1:179
	v_fma_f32 v101, v56, v38, -v17
	v_mul_f32_e32 v102, v56, v39
	s_waitcnt vmcnt(3)
	v_mul_f32_e32 v17, v59, v33
	v_mul_f32_e32 v104, v58, v33
	v_fmac_f32_e32 v102, v57, v38
	v_fma_f32 v103, v58, v32, -v17
	v_fmac_f32_e32 v104, v59, v32
	ds_read2_b64 v[56:59], v60 offset0:142 offset1:233
	s_waitcnt lgkmcnt(2)
	v_mul_f32_e32 v17, v90, v35
	v_fma_f32 v105, v89, v34, -v17
	s_waitcnt vmcnt(2)
	v_mul_f32_e32 v17, v92, v29
	v_fma_f32 v107, v91, v28, -v17
	s_waitcnt lgkmcnt(1)
	v_mul_f32_e32 v17, v53, v31
	v_mul_f32_e32 v106, v89, v35
	v_fma_f32 v109, v52, v30, -v17
	s_waitcnt vmcnt(1)
	v_mul_f32_e32 v17, v55, v45
	v_fmac_f32_e32 v106, v90, v34
	v_fma_f32 v90, v54, v44, -v17
	s_waitcnt lgkmcnt(0)
	v_mul_f32_e32 v17, v57, v47
	v_mul_f32_e32 v89, v56, v47
	;; [unrolled: 1-line block ×3, first 2 shown]
	v_fma_f32 v70, v56, v46, -v17
	v_fmac_f32_e32 v89, v57, v46
	ds_read_b64 v[56:57], v93 offset:8736
	v_fmac_f32_e32 v108, v92, v28
	v_mul_f32_e32 v110, v52, v31
	v_mul_f32_e32 v92, v54, v45
	v_fmac_f32_e32 v110, v53, v30
	v_fmac_f32_e32 v92, v55, v44
	ds_read2_b64 v[52:55], v93 offset1:91
	s_waitcnt vmcnt(0)
	v_mul_f32_e32 v17, v59, v49
	v_fma_f32 v65, v58, v48, -v17
	s_waitcnt lgkmcnt(1)
	v_mul_f32_e32 v17, v57, v51
	v_mul_f32_e32 v58, v58, v49
	v_fma_f32 v17, v56, v50, -v17
	v_mul_f32_e32 v56, v56, v51
	v_fmac_f32_e32 v58, v59, v48
	v_fmac_f32_e32 v56, v57, v50
	s_waitcnt lgkmcnt(0)
	v_mul_f32_e32 v57, v55, v41
	v_mul_f32_e32 v59, v54, v41
	v_fma_f32 v57, v54, v40, -v57
	v_fmac_f32_e32 v59, v55, v40
	v_add_f32_e32 v54, v52, v57
	v_add_f32_e32 v55, v53, v59
	;; [unrolled: 1-line block ×25, first 2 shown]
	v_sub_f32_e32 v54, v57, v17
	v_add_f32_e32 v17, v59, v56
	v_sub_f32_e32 v56, v59, v56
	v_add_f32_e32 v62, v63, v65
	v_sub_f32_e32 v65, v63, v65
	v_add_f32_e32 v63, v66, v58
	v_sub_f32_e32 v66, v66, v58
	v_mul_f32_e32 v59, 0xbeedf032, v56
	v_fma_f32 v57, v55, s12, -v59
	v_mul_f32_e32 v58, 0xbf52af12, v66
	v_add_f32_e32 v57, v52, v57
	v_fma_f32 v67, v62, s13, -v58
	v_mul_f32_e32 v111, 0xbeedf032, v54
	v_add_f32_e32 v91, v67, v57
	v_mov_b32_e32 v57, v111
	v_fmac_f32_e32 v57, 0x3f62ad3f, v17
	v_add_f32_e32 v67, v53, v57
	v_mul_f32_e32 v57, 0xbf52af12, v65
	v_mov_b32_e32 v112, v57
	v_fmac_f32_e32 v112, 0x3f116cb1, v63
	v_add_f32_e32 v112, v112, v67
	v_add_f32_e32 v67, v69, v70
	v_sub_f32_e32 v70, v69, v70
	v_add_f32_e32 v69, v71, v89
	v_sub_f32_e32 v71, v71, v89
	v_mul_f32_e32 v113, 0xbf7e222b, v71
	v_fma_f32 v89, v67, s14, -v113
	v_mul_f32_e32 v115, 0xbf7e222b, v70
	v_add_f32_e32 v114, v89, v91
	v_mov_b32_e32 v89, v115
	v_fmac_f32_e32 v89, 0x3df6dbef, v69
	v_add_f32_e32 v112, v89, v112
	v_add_f32_e32 v89, v101, v90
	v_sub_f32_e32 v91, v101, v90
	v_add_f32_e32 v90, v102, v92
	v_sub_f32_e32 v92, v102, v92
	v_mul_f32_e32 v116, 0xbf6f5d39, v92
	v_fma_f32 v101, v89, s16, -v116
	v_add_f32_e32 v101, v101, v114
	v_mul_f32_e32 v114, 0xbf6f5d39, v91
	v_mov_b32_e32 v102, v114
	v_fmac_f32_e32 v102, 0xbeb58ec6, v90
	v_add_f32_e32 v102, v102, v112
	v_add_f32_e32 v112, v103, v109
	v_sub_f32_e32 v103, v103, v109
	v_add_f32_e32 v109, v104, v110
	v_sub_f32_e32 v104, v104, v110
	v_mul_f32_e32 v110, 0xbf29c268, v104
	v_fma_f32 v117, v112, s17, -v110
	v_add_f32_e32 v101, v117, v101
	v_mul_f32_e32 v117, 0xbf29c268, v103
	;; [unrolled: 11-line block ×3, first 2 shown]
	v_mov_b32_e32 v120, v119
	v_fmac_f32_e32 v120, 0xbf788fa5, v107
	v_add_f32_e32 v102, v120, v102
	v_mul_f32_e32 v120, 0xbf52af12, v56
	ds_write2_b64 v93, v[99:100], v[101:102] offset1:91
	v_fma_f32 v99, v55, s13, -v120
	v_mul_f32_e32 v121, 0xbf6f5d39, v66
	v_add_f32_e32 v99, v52, v99
	v_fma_f32 v100, v62, s16, -v121
	v_mul_f32_e32 v122, 0xbf52af12, v54
	v_add_f32_e32 v99, v100, v99
	v_mov_b32_e32 v100, v122
	v_mul_f32_e32 v123, 0xbf6f5d39, v65
	v_fmac_f32_e32 v100, 0x3f116cb1, v17
	v_mov_b32_e32 v101, v123
	v_add_f32_e32 v100, v53, v100
	v_fmac_f32_e32 v101, 0xbeb58ec6, v63
	v_mul_f32_e32 v124, 0xbe750f2a, v71
	v_add_f32_e32 v100, v101, v100
	v_fma_f32 v101, v67, s18, -v124
	v_mul_f32_e32 v125, 0xbe750f2a, v70
	v_add_f32_e32 v99, v101, v99
	v_mov_b32_e32 v101, v125
	v_fmac_f32_e32 v101, 0xbf788fa5, v69
	v_mul_f32_e32 v126, 0x3f29c268, v92
	v_add_f32_e32 v100, v101, v100
	v_fma_f32 v101, v89, s17, -v126
	v_mul_f32_e32 v127, 0x3f29c268, v91
	v_add_f32_e32 v99, v101, v99
	v_mov_b32_e32 v101, v127
	;; [unrolled: 7-line block ×4, first 2 shown]
	v_fmac_f32_e32 v101, 0x3f62ad3f, v107
	v_mul_f32_e32 v132, 0xbf7e222b, v56
	v_add_f32_e32 v100, v101, v100
	v_fma_f32 v101, v55, s14, -v132
	v_mul_f32_e32 v133, 0xbe750f2a, v66
	v_add_f32_e32 v101, v52, v101
	v_fma_f32 v102, v62, s18, -v133
	v_mul_f32_e32 v134, 0xbf7e222b, v54
	v_add_f32_e32 v101, v102, v101
	v_mov_b32_e32 v102, v134
	v_mul_f32_e32 v135, 0xbe750f2a, v65
	v_fmac_f32_e32 v102, 0x3df6dbef, v17
	v_mov_b32_e32 v136, v135
	v_add_f32_e32 v102, v53, v102
	v_fmac_f32_e32 v136, 0xbf788fa5, v63
	v_add_f32_e32 v102, v136, v102
	v_mul_f32_e32 v136, 0x3f6f5d39, v71
	v_fma_f32 v137, v67, s16, -v136
	v_add_f32_e32 v101, v137, v101
	v_mul_f32_e32 v137, 0x3f6f5d39, v70
	v_mov_b32_e32 v138, v137
	v_fmac_f32_e32 v138, 0xbeb58ec6, v69
	v_add_f32_e32 v102, v138, v102
	v_mul_f32_e32 v138, 0x3eedf032, v92
	v_fma_f32 v139, v89, s12, -v138
	v_add_f32_e32 v101, v139, v101
	v_mul_f32_e32 v139, 0x3eedf032, v91
	v_mov_b32_e32 v140, v139
	;; [unrolled: 7-line block ×4, first 2 shown]
	v_fmac_f32_e32 v144, 0xbf3f9e67, v107
	v_add_f32_e32 v102, v144, v102
	ds_write2_b64 v16, v[99:100], v[101:102] offset0:54 offset1:145
	v_mul_f32_e32 v16, 0xbf6f5d39, v56
	v_mul_f32_e32 v100, 0xbf29c268, v56
	;; [unrolled: 1-line block ×3, first 2 shown]
	v_fmac_f32_e32 v59, 0x3f62ad3f, v55
	v_fmac_f32_e32 v120, 0x3f116cb1, v55
	;; [unrolled: 1-line block ×3, first 2 shown]
	v_fma_f32 v99, v55, s16, -v16
	v_fmac_f32_e32 v16, 0xbeb58ec6, v55
	v_fma_f32 v101, v55, s17, -v100
	v_fmac_f32_e32 v100, 0xbf3f9e67, v55
	;; [unrolled: 2-line block ×3, first 2 shown]
	v_fma_f32 v55, v17, s12, -v111
	v_fma_f32 v111, v17, s13, -v122
	;; [unrolled: 1-line block ×3, first 2 shown]
	v_mul_f32_e32 v134, 0xbf6f5d39, v54
	v_mul_f32_e32 v145, 0xbf29c268, v54
	;; [unrolled: 1-line block ×3, first 2 shown]
	v_mov_b32_e32 v144, v134
	v_mov_b32_e32 v146, v145
	;; [unrolled: 1-line block ×3, first 2 shown]
	v_fmac_f32_e32 v144, 0xbeb58ec6, v17
	v_fma_f32 v134, v17, s16, -v134
	v_fmac_f32_e32 v146, 0xbf3f9e67, v17
	v_fma_f32 v145, v17, s17, -v145
	;; [unrolled: 2-line block ×3, first 2 shown]
	v_add_f32_e32 v54, v52, v59
	v_add_f32_e32 v55, v53, v55
	;; [unrolled: 1-line block ×12, first 2 shown]
	v_fmac_f32_e32 v58, 0x3f116cb1, v62
	v_fma_f32 v53, v63, s16, -v123
	v_add_f32_e32 v144, v52, v16
	v_add_f32_e32 v16, v58, v54
	v_add_f32_e32 v53, v53, v111
	v_fma_f32 v54, v69, s18, -v125
	v_add_f32_e32 v53, v54, v53
	v_fma_f32 v54, v90, s17, -v127
	v_fma_f32 v17, v63, s13, -v57
	v_add_f32_e32 v53, v54, v53
	v_fma_f32 v54, v109, s14, -v129
	v_add_f32_e32 v17, v17, v55
	v_add_f32_e32 v53, v54, v53
	v_fma_f32 v55, v107, s12, -v131
	v_add_f32_e32 v55, v55, v53
	v_fma_f32 v53, v63, s18, -v135
	v_add_f32_e32 v150, v52, v56
	v_add_f32_e32 v53, v53, v122
	;; [unrolled: 5-line block ×3, first 2 shown]
	v_add_f32_e32 v148, v52, v100
	v_add_f32_e32 v149, v52, v102
	v_fmac_f32_e32 v113, 0x3df6dbef, v67
	v_fma_f32 v52, v69, s14, -v115
	v_add_f32_e32 v53, v56, v53
	v_fma_f32 v56, v109, s13, -v141
	v_add_f32_e32 v16, v113, v16
	v_fmac_f32_e32 v116, 0xbeb58ec6, v89
	v_add_f32_e32 v17, v52, v17
	v_fma_f32 v52, v90, s16, -v114
	v_add_f32_e32 v53, v56, v53
	v_fma_f32 v56, v107, s17, -v143
	v_add_f32_e32 v16, v116, v16
	v_fmac_f32_e32 v110, 0xbf3f9e67, v112
	v_add_f32_e32 v17, v52, v17
	v_fma_f32 v52, v109, s17, -v117
	v_add_f32_e32 v53, v56, v53
	v_mul_f32_e32 v56, 0x3f29c268, v66
	v_add_f32_e32 v16, v110, v16
	v_fmac_f32_e32 v108, 0xbf788fa5, v118
	v_add_f32_e32 v17, v52, v17
	v_fma_f32 v52, v107, s18, -v119
	v_fmac_f32_e32 v121, 0xbeb58ec6, v62
	v_fma_f32 v57, v62, s17, -v56
	v_mul_f32_e32 v58, 0x3f29c268, v65
	v_mul_f32_e32 v102, 0x3eedf032, v71
	v_add_f32_e32 v16, v108, v16
	v_add_f32_e32 v17, v52, v17
	;; [unrolled: 1-line block ×4, first 2 shown]
	v_mov_b32_e32 v59, v58
	v_fma_f32 v99, v67, s12, -v102
	v_mul_f32_e32 v108, 0x3eedf032, v70
	v_fmac_f32_e32 v59, 0xbf3f9e67, v63
	v_add_f32_e32 v57, v99, v57
	v_mov_b32_e32 v99, v108
	v_add_f32_e32 v59, v59, v132
	v_fmac_f32_e32 v99, 0x3f62ad3f, v69
	v_mul_f32_e32 v110, 0xbf7e222b, v92
	v_add_f32_e32 v59, v99, v59
	v_fma_f32 v99, v89, s14, -v110
	v_mul_f32_e32 v111, 0xbf7e222b, v91
	v_add_f32_e32 v57, v99, v57
	v_mov_b32_e32 v99, v111
	v_fmac_f32_e32 v99, 0x3df6dbef, v90
	v_mul_f32_e32 v113, 0x3e750f2a, v104
	v_add_f32_e32 v59, v99, v59
	v_fma_f32 v99, v112, s18, -v113
	v_mul_f32_e32 v114, 0x3e750f2a, v103
	v_add_f32_e32 v57, v99, v57
	v_mov_b32_e32 v99, v114
	v_fmac_f32_e32 v99, 0xbf788fa5, v109
	v_mul_f32_e32 v115, 0x3f52af12, v106
	v_add_f32_e32 v59, v99, v59
	v_fma_f32 v99, v118, s13, -v115
	v_add_f32_e32 v99, v99, v57
	v_mul_f32_e32 v57, 0x3f52af12, v105
	v_mov_b32_e32 v100, v57
	v_fmac_f32_e32 v56, 0xbf3f9e67, v62
	v_fmac_f32_e32 v100, 0x3f116cb1, v107
	v_add_f32_e32 v56, v56, v144
	v_fma_f32 v58, v63, s17, -v58
	v_fmac_f32_e32 v102, 0x3f62ad3f, v67
	v_add_f32_e32 v100, v100, v59
	v_add_f32_e32 v58, v58, v134
	;; [unrolled: 1-line block ×3, first 2 shown]
	v_fma_f32 v59, v69, s12, -v108
	v_fmac_f32_e32 v110, 0x3df6dbef, v89
	v_add_f32_e32 v58, v59, v58
	v_add_f32_e32 v56, v110, v56
	v_fma_f32 v59, v90, s14, -v111
	v_fmac_f32_e32 v113, 0xbf788fa5, v112
	v_add_f32_e32 v58, v59, v58
	v_add_f32_e32 v56, v113, v56
	v_fma_f32 v59, v109, s18, -v114
	v_fmac_f32_e32 v115, 0x3f116cb1, v118
	v_add_f32_e32 v59, v59, v58
	v_fma_f32 v57, v107, s13, -v57
	v_add_f32_e32 v58, v115, v56
	v_mul_f32_e32 v56, 0x3f7e222b, v66
	v_add_f32_e32 v59, v57, v59
	v_fma_f32 v57, v62, s14, -v56
	v_mul_f32_e32 v108, 0x3f7e222b, v65
	v_mul_f32_e32 v110, 0xbf52af12, v71
	v_add_f32_e32 v57, v57, v101
	v_mov_b32_e32 v101, v108
	v_fma_f32 v102, v67, s13, -v110
	v_mul_f32_e32 v111, 0xbf52af12, v70
	v_fmac_f32_e32 v101, 0x3df6dbef, v63
	v_add_f32_e32 v57, v102, v57
	v_mov_b32_e32 v102, v111
	v_add_f32_e32 v101, v101, v146
	v_fmac_f32_e32 v102, 0x3f116cb1, v69
	v_mul_f32_e32 v113, 0x3e750f2a, v92
	v_add_f32_e32 v101, v102, v101
	v_fma_f32 v102, v89, s18, -v113
	v_mul_f32_e32 v114, 0x3e750f2a, v91
	v_add_f32_e32 v57, v102, v57
	v_mov_b32_e32 v102, v114
	v_fmac_f32_e32 v102, 0xbf788fa5, v90
	v_mul_f32_e32 v115, 0x3eedf032, v104
	v_add_f32_e32 v101, v102, v101
	v_fma_f32 v102, v112, s12, -v115
	v_mul_f32_e32 v116, 0x3eedf032, v103
	v_fmac_f32_e32 v56, 0x3df6dbef, v62
	v_add_f32_e32 v57, v102, v57
	v_mov_b32_e32 v102, v116
	v_add_f32_e32 v56, v56, v148
	v_fmac_f32_e32 v110, 0x3f116cb1, v67
	v_fma_f32 v108, v63, s14, -v108
	v_fmac_f32_e32 v102, 0x3f62ad3f, v109
	v_mul_f32_e32 v117, 0xbf6f5d39, v106
	v_add_f32_e32 v56, v110, v56
	v_add_f32_e32 v108, v108, v145
	v_fma_f32 v110, v69, s13, -v111
	v_add_f32_e32 v102, v102, v101
	v_fma_f32 v101, v118, s16, -v117
	;; [unrolled: 2-line block ×3, first 2 shown]
	v_add_f32_e32 v101, v101, v57
	v_mul_f32_e32 v57, 0xbf6f5d39, v105
	v_add_f32_e32 v108, v110, v108
	v_fma_f32 v110, v109, s12, -v116
	v_mov_b32_e32 v119, v57
	v_add_f32_e32 v108, v110, v108
	v_fma_f32 v57, v107, s16, -v57
	v_add_f32_e32 v57, v57, v108
	v_mul_f32_e32 v108, 0x3eedf032, v66
	v_fma_f32 v66, v62, s12, -v108
	v_mul_f32_e32 v110, 0x3eedf032, v65
	v_mul_f32_e32 v71, 0xbf29c268, v71
	v_add_f32_e32 v66, v66, v149
	v_mov_b32_e32 v65, v110
	v_fma_f32 v111, v67, s17, -v71
	v_mul_f32_e32 v70, 0xbf29c268, v70
	v_fmac_f32_e32 v65, 0x3f62ad3f, v63
	v_add_f32_e32 v66, v111, v66
	v_mov_b32_e32 v111, v70
	v_add_f32_e32 v65, v65, v147
	v_fmac_f32_e32 v111, 0xbf3f9e67, v69
	v_mul_f32_e32 v92, 0x3f52af12, v92
	v_add_f32_e32 v65, v111, v65
	v_fma_f32 v111, v89, s13, -v92
	v_mul_f32_e32 v91, 0x3f52af12, v91
	v_fmac_f32_e32 v124, 0xbf788fa5, v67
	v_add_f32_e32 v66, v111, v66
	v_mov_b32_e32 v111, v91
	v_add_f32_e32 v52, v124, v52
	v_fmac_f32_e32 v126, 0xbf3f9e67, v89
	v_fmac_f32_e32 v111, 0x3f116cb1, v90
	v_mul_f32_e32 v104, 0xbf6f5d39, v104
	v_fmac_f32_e32 v108, 0x3f62ad3f, v62
	v_add_f32_e32 v52, v126, v52
	v_fmac_f32_e32 v128, 0x3df6dbef, v112
	v_fmac_f32_e32 v133, 0xbf788fa5, v62
	v_add_f32_e32 v65, v111, v65
	v_fma_f32 v111, v112, s16, -v104
	v_mul_f32_e32 v103, 0xbf6f5d39, v103
	v_add_f32_e32 v62, v108, v150
	v_fma_f32 v63, v63, s12, -v110
	v_fmac_f32_e32 v71, 0xbf3f9e67, v67
	v_add_f32_e32 v52, v128, v52
	v_fmac_f32_e32 v130, 0x3f62ad3f, v118
	v_fmac_f32_e32 v136, 0xbeb58ec6, v67
	v_add_f32_e32 v66, v111, v66
	v_mov_b32_e32 v111, v103
	v_add_f32_e32 v63, v63, v151
	v_add_f32_e32 v62, v71, v62
	v_fma_f32 v67, v69, s17, -v70
	v_fmac_f32_e32 v92, 0x3f116cb1, v89
	v_add_f32_e32 v54, v130, v52
	v_add_f32_e32 v52, v133, v120
	v_fmac_f32_e32 v111, 0xbeb58ec6, v109
	v_mul_f32_e32 v106, 0x3f7e222b, v106
	v_add_f32_e32 v63, v67, v63
	v_add_f32_e32 v62, v92, v62
	v_fma_f32 v67, v90, s13, -v91
	v_fmac_f32_e32 v104, 0xbeb58ec6, v112
	v_add_f32_e32 v52, v136, v52
	v_fmac_f32_e32 v138, 0x3f62ad3f, v89
	v_fmac_f32_e32 v113, 0xbf788fa5, v89
	v_add_f32_e32 v111, v111, v65
	v_fma_f32 v65, v118, s14, -v106
	v_mul_f32_e32 v105, 0x3f7e222b, v105
	v_add_f32_e32 v63, v67, v63
	v_add_f32_e32 v62, v104, v62
	v_fma_f32 v67, v109, s16, -v103
	v_fmac_f32_e32 v106, 0x3df6dbef, v118
	v_add_f32_e32 v52, v138, v52
	v_fmac_f32_e32 v140, 0x3f116cb1, v112
	v_fmac_f32_e32 v119, 0xbeb58ec6, v107
	v_add_f32_e32 v56, v113, v56
	v_fmac_f32_e32 v115, 0x3f62ad3f, v112
	v_add_f32_e32 v65, v65, v66
	v_mov_b32_e32 v66, v105
	v_add_f32_e32 v63, v67, v63
	v_fma_f32 v67, v107, s14, -v105
	v_add_f32_e32 v89, v106, v62
	v_mov_b32_e32 v62, s15
	v_add_f32_e32 v52, v140, v52
	v_fmac_f32_e32 v142, 0xbf3f9e67, v118
	v_add_f32_e32 v102, v119, v102
	v_add_f32_e32 v56, v115, v56
	v_fmac_f32_e32 v117, 0xbeb58ec6, v118
	v_fmac_f32_e32 v66, 0x3df6dbef, v107
	v_add_f32_e32 v90, v67, v63
	v_addc_co_u32_e64 v67, vcc, 0, v62, s[2:3]
	s_movk_i32 s2, 0x2000
	v_add_f32_e32 v52, v142, v52
	v_add_f32_e32 v56, v117, v56
	;; [unrolled: 1-line block ×3, first 2 shown]
	ds_write2_b64 v64, v[99:100], v[101:102] offset0:108 offset1:199
	ds_write2_b64 v61, v[65:66], v[89:90] offset0:34 offset1:125
	;; [unrolled: 1-line block ×4, first 2 shown]
	ds_write_b64 v93, v[16:17] offset:8736
	v_add_co_u32_e32 v60, vcc, s2, v72
	v_addc_co_u32_e32 v61, vcc, 0, v67, vcc
	s_waitcnt lgkmcnt(0)
	s_barrier
	global_load_dwordx2 v[62:63], v[60:61], off offset:1272
	s_movk_i32 s2, 0x24f8
	v_add_co_u32_e32 v60, vcc, s2, v72
	v_addc_co_u32_e32 v61, vcc, 0, v67, vcc
	global_load_dwordx2 v[65:66], v[60:61], off offset:1352
	global_load_dwordx2 v[69:70], v[60:61], off offset:2704
	;; [unrolled: 1-line block ×3, first 2 shown]
	s_movk_i32 s2, 0x3000
	v_add_co_u32_e32 v99, vcc, s2, v72
	v_addc_co_u32_e32 v100, vcc, 0, v67, vcc
	global_load_dwordx2 v[107:108], v[99:100], off offset:2584
	global_load_dwordx2 v[109:110], v[99:100], off offset:3936
	v_add_co_u32_e32 v99, vcc, 0x4000, v72
	v_addc_co_u32_e32 v100, vcc, 0, v67, vcc
	global_load_dwordx2 v[111:112], v[99:100], off offset:1192
	ds_read2_b64 v[99:102], v93 offset1:169
	ds_read2_b64 v[103:106], v64 offset0:82 offset1:251
	s_waitcnt vmcnt(6) lgkmcnt(1)
	v_mul_f32_e32 v67, v100, v63
	v_mul_f32_e32 v114, v99, v63
	v_fma_f32 v113, v99, v62, -v67
	v_fmac_f32_e32 v114, v100, v62
	s_waitcnt vmcnt(5)
	v_mul_f32_e32 v62, v102, v66
	v_mul_f32_e32 v63, v101, v66
	v_fma_f32 v62, v101, v65, -v62
	v_fmac_f32_e32 v63, v102, v65
	ds_read2_b64 v[99:102], v68 offset0:36 offset1:205
	s_waitcnt vmcnt(4) lgkmcnt(1)
	v_mul_f32_e32 v65, v104, v70
	v_mul_f32_e32 v66, v103, v70
	s_waitcnt vmcnt(3)
	v_mul_f32_e32 v67, v106, v92
	v_fma_f32 v65, v103, v69, -v65
	v_fmac_f32_e32 v66, v104, v69
	v_fma_f32 v69, v105, v91, -v67
	v_mul_f32_e32 v70, v105, v92
	s_waitcnt vmcnt(2) lgkmcnt(0)
	v_mul_f32_e32 v67, v100, v108
	v_mul_f32_e32 v92, v99, v108
	v_fmac_f32_e32 v70, v106, v91
	v_fma_f32 v91, v99, v107, -v67
	v_fmac_f32_e32 v92, v100, v107
	s_waitcnt vmcnt(1)
	v_mul_f32_e32 v67, v102, v110
	v_mul_f32_e32 v100, v101, v110
	v_fma_f32 v99, v101, v109, -v67
	v_fmac_f32_e32 v100, v102, v109
	ds_read_b64 v[101:102], v93 offset:8112
	ds_write2_b64 v93, v[113:114], v[62:63] offset1:169
	ds_write2_b64 v64, v[65:66], v[69:70] offset0:82 offset1:251
	ds_write2_b64 v68, v[91:92], v[99:100] offset0:36 offset1:205
	s_waitcnt vmcnt(0) lgkmcnt(3)
	v_mul_f32_e32 v62, v102, v112
	v_mul_f32_e32 v63, v101, v112
	v_fma_f32 v62, v101, v111, -v62
	v_fmac_f32_e32 v63, v102, v111
	ds_write_b64 v93, v[62:63] offset:8112
	s_and_saveexec_b64 s[2:3], s[0:1]
	s_cbranch_execz .LBB0_9
; %bb.8:
	v_add_co_u32_e32 v62, vcc, s4, v60
	v_addc_co_u32_e32 v63, vcc, 0, v61, vcc
	global_load_dwordx2 v[65:66], v[60:61], off offset:728
	global_load_dwordx2 v[69:70], v[60:61], off offset:2080
	;; [unrolled: 1-line block ×3, first 2 shown]
	v_add_co_u32_e32 v60, vcc, 0x2000, v60
	global_load_dwordx2 v[107:108], v[62:63], off offset:688
	global_load_dwordx2 v[109:110], v[62:63], off offset:2040
	;; [unrolled: 1-line block ×3, first 2 shown]
	v_addc_co_u32_e32 v61, vcc, 0, v61, vcc
	global_load_dwordx2 v[113:114], v[60:61], off offset:648
	v_add_u32_e32 v119, 0x200, v93
	ds_read2_b64 v[60:63], v119 offset0:27 offset1:196
	v_add_u32_e32 v120, 0xc00, v93
	v_add_u32_e32 v121, 0x1600, v93
	ds_read_b64 v[115:116], v93 offset:8840
	ds_read2_b64 v[99:102], v120 offset0:45 offset1:214
	ds_read2_b64 v[103:106], v121 offset0:63 offset1:232
	s_waitcnt vmcnt(6) lgkmcnt(3)
	v_mul_f32_e32 v117, v61, v66
	v_mul_f32_e32 v67, v60, v66
	s_waitcnt vmcnt(5)
	v_mul_f32_e32 v122, v63, v70
	v_mul_f32_e32 v71, v62, v70
	s_waitcnt vmcnt(4) lgkmcnt(1)
	v_mul_f32_e32 v123, v100, v92
	v_mul_f32_e32 v118, v99, v92
	v_fma_f32 v66, v60, v65, -v117
	v_fmac_f32_e32 v67, v61, v65
	v_fma_f32 v70, v62, v69, -v122
	v_fmac_f32_e32 v71, v63, v69
	s_waitcnt vmcnt(1) lgkmcnt(0)
	v_mul_f32_e32 v65, v106, v112
	v_fma_f32 v117, v99, v91, -v123
	v_fmac_f32_e32 v118, v100, v91
	v_mul_f32_e32 v60, v102, v108
	v_mul_f32_e32 v61, v101, v108
	ds_write2_b64 v119, v[66:67], v[70:71] offset0:27 offset1:196
	v_fma_f32 v91, v105, v111, -v65
	s_waitcnt vmcnt(0)
	v_mul_f32_e32 v65, v116, v114
	v_mul_f32_e32 v66, v115, v114
	;; [unrolled: 1-line block ×5, first 2 shown]
	v_fma_f32 v60, v101, v107, -v60
	v_fmac_f32_e32 v61, v102, v107
	v_fma_f32 v65, v115, v113, -v65
	v_fmac_f32_e32 v66, v116, v113
	;; [unrolled: 2-line block ×3, first 2 shown]
	v_fmac_f32_e32 v92, v106, v111
	ds_write2_b64 v120, v[117:118], v[60:61] offset0:45 offset1:214
	ds_write2_b64 v121, v[62:63], v[91:92] offset0:63 offset1:232
	ds_write_b64 v93, v[65:66] offset:8840
.LBB0_9:
	s_or_b64 exec, exec, s[2:3]
	s_waitcnt lgkmcnt(0)
	s_barrier
	ds_read2_b64 v[60:63], v93 offset1:169
	ds_read2_b64 v[64:67], v64 offset0:82 offset1:251
	ds_read2_b64 v[68:71], v68 offset0:36 offset1:205
	ds_read_b64 v[91:92], v93 offset:8112
	s_and_saveexec_b64 s[2:3], s[0:1]
	s_cbranch_execz .LBB0_11
; %bb.10:
	v_lshl_add_u32 v16, v94, 3, v95
	v_add_u32_e32 v17, 0x800, v16
	ds_read2_b64 v[56:59], v17 offset0:4 offset1:173
	v_add_u32_e32 v17, 0x1000, v16
	v_add_u32_e32 v16, 0x1c00, v16
	ds_read_b64 v[89:90], v93 offset:728
	ds_read2_b64 v[52:55], v17 offset0:86 offset1:255
	ds_read2_b64 v[16:19], v16 offset0:40 offset1:209
.LBB0_11:
	s_or_b64 exec, exec, s[2:3]
	s_waitcnt lgkmcnt(0)
	v_add_f32_e32 v99, v62, v91
	v_sub_f32_e32 v62, v62, v91
	v_add_f32_e32 v91, v64, v70
	v_add_f32_e32 v100, v63, v92
	v_sub_f32_e32 v63, v63, v92
	v_add_f32_e32 v92, v65, v71
	v_sub_f32_e32 v64, v64, v70
	;; [unrolled: 2-line block ×5, first 2 shown]
	v_add_f32_e32 v69, v92, v100
	v_add_f32_e32 v68, v70, v68
	;; [unrolled: 1-line block ×4, first 2 shown]
	v_sub_f32_e32 v101, v91, v99
	v_sub_f32_e32 v102, v92, v100
	;; [unrolled: 1-line block ×6, first 2 shown]
	v_add_f32_e32 v103, v66, v64
	v_add_f32_e32 v104, v67, v65
	v_sub_f32_e32 v105, v66, v64
	v_sub_f32_e32 v106, v67, v65
	v_add_f32_e32 v61, v61, v69
	v_mov_b32_e32 v107, v60
	v_sub_f32_e32 v66, v62, v66
	v_sub_f32_e32 v67, v63, v67
	;; [unrolled: 1-line block ×4, first 2 shown]
	v_add_f32_e32 v62, v103, v62
	v_add_f32_e32 v63, v104, v63
	v_mul_f32_e32 v70, 0x3f4a47b2, v99
	v_mul_f32_e32 v71, 0x3f4a47b2, v100
	;; [unrolled: 1-line block ×6, first 2 shown]
	s_mov_b32 s4, 0xbf5ff5aa
	v_fmac_f32_e32 v107, 0xbf955555, v68
	v_mov_b32_e32 v68, v61
	s_mov_b32 s5, 0x3f3bfb3b
	s_mov_b32 s12, 0xbf3bfb3b
	v_mul_f32_e32 v105, 0xbf5ff5aa, v64
	v_mul_f32_e32 v106, 0xbf5ff5aa, v65
	v_fmac_f32_e32 v68, 0xbf955555, v69
	v_fma_f32 v69, v101, s5, -v99
	v_fma_f32 v99, v102, s5, -v100
	;; [unrolled: 1-line block ×3, first 2 shown]
	v_fmac_f32_e32 v70, 0x3d64c772, v91
	v_fma_f32 v91, v102, s12, -v71
	v_fmac_f32_e32 v71, 0x3d64c772, v92
	v_fma_f32 v92, v64, s4, -v103
	;; [unrolled: 2-line block ×3, first 2 shown]
	v_fmac_f32_e32 v104, 0xbeae86e6, v67
	s_mov_b32 s13, 0x3eae86e6
	v_fma_f32 v102, v66, s13, -v105
	v_fma_f32 v105, v67, s13, -v106
	v_add_f32_e32 v106, v70, v107
	v_add_f32_e32 v108, v71, v68
	v_fmac_f32_e32 v103, 0xbee1c552, v62
	v_fmac_f32_e32 v104, 0xbee1c552, v63
	v_add_f32_e32 v69, v69, v107
	v_add_f32_e32 v70, v99, v68
	;; [unrolled: 1-line block ×4, first 2 shown]
	v_fmac_f32_e32 v92, 0xbee1c552, v62
	v_fmac_f32_e32 v101, 0xbee1c552, v63
	;; [unrolled: 1-line block ×4, first 2 shown]
	v_add_f32_e32 v62, v106, v104
	v_sub_f32_e32 v63, v108, v103
	v_add_f32_e32 v64, v105, v71
	v_sub_f32_e32 v65, v91, v102
	v_sub_f32_e32 v66, v69, v101
	v_add_f32_e32 v67, v92, v70
	v_add_f32_e32 v68, v101, v69
	v_sub_f32_e32 v69, v70, v92
	v_sub_f32_e32 v70, v71, v105
	v_add_f32_e32 v71, v102, v91
	v_sub_f32_e32 v91, v106, v104
	v_add_f32_e32 v92, v103, v108
	s_barrier
	ds_write2_b64 v97, v[60:61], v[62:63] offset1:1
	ds_write2_b64 v97, v[64:65], v[66:67] offset0:2 offset1:3
	ds_write2_b64 v97, v[68:69], v[70:71] offset0:4 offset1:5
	ds_write_b64 v97, v[91:92] offset:48
	s_and_saveexec_b64 s[2:3], s[0:1]
	s_cbranch_execz .LBB0_13
; %bb.12:
	v_sub_f32_e32 v64, v56, v18
	v_sub_f32_e32 v60, v54, v52
	;; [unrolled: 1-line block ×5, first 2 shown]
	v_add_f32_e32 v60, v60, v66
	v_add_f32_e32 v69, v60, v64
	;; [unrolled: 1-line block ×4, first 2 shown]
	v_mul_f32_e32 v67, 0x3f08b237, v61
	v_sub_f32_e32 v61, v70, v60
	v_mul_f32_e32 v71, 0x3f4a47b2, v61
	v_add_f32_e32 v91, v17, v59
	v_sub_f32_e32 v61, v60, v91
	v_mov_b32_e32 v62, v71
	v_mul_f32_e32 v92, 0x3d64c772, v61
	v_fmac_f32_e32 v62, 0x3d64c772, v61
	v_add_f32_e32 v61, v91, v70
	v_add_f32_e32 v60, v60, v61
	;; [unrolled: 1-line block ×5, first 2 shown]
	v_mov_b32_e32 v90, v61
	v_sub_f32_e32 v54, v18, v52
	v_fmac_f32_e32 v90, 0xbf955555, v60
	v_mul_f32_e32 v54, 0x3f4a47b2, v54
	v_add_f32_e32 v16, v16, v58
	v_add_f32_e32 v97, v62, v90
	v_sub_f32_e32 v56, v52, v16
	v_mov_b32_e32 v62, v54
	v_mul_f32_e32 v58, 0x3d64c772, v56
	v_fmac_f32_e32 v62, 0x3d64c772, v56
	v_add_f32_e32 v56, v16, v18
	v_add_f32_e32 v52, v52, v56
	;; [unrolled: 1-line block ×3, first 2 shown]
	v_mov_b32_e32 v56, v60
	v_fmac_f32_e32 v56, 0xbf955555, v52
	v_sub_f32_e32 v52, v55, v53
	v_sub_f32_e32 v55, v59, v17
	;; [unrolled: 1-line block ×4, first 2 shown]
	v_mul_f32_e32 v57, 0x3f08b237, v17
	v_sub_f32_e32 v18, v16, v18
	v_mov_b32_e32 v68, v67
	v_sub_f32_e32 v53, v19, v52
	v_mov_b32_e32 v59, v57
	v_add_f32_e32 v17, v52, v55
	v_sub_f32_e32 v64, v66, v64
	v_fma_f32 v16, v18, s12, -v54
	v_sub_f32_e32 v55, v55, v19
	v_fmac_f32_e32 v68, 0xbeae86e6, v65
	v_fmac_f32_e32 v59, 0xbeae86e6, v53
	v_add_f32_e32 v52, v17, v19
	v_mul_f32_e32 v17, 0xbf5ff5aa, v64
	v_sub_f32_e32 v66, v91, v70
	v_add_f32_e32 v54, v16, v56
	v_mul_f32_e32 v16, 0xbf5ff5aa, v55
	v_fmac_f32_e32 v68, 0xbee1c552, v69
	v_add_f32_e32 v89, v62, v56
	v_fmac_f32_e32 v59, 0xbee1c552, v52
	v_fma_f32 v65, v65, s13, -v17
	v_fma_f32 v17, v66, s12, -v71
	;; [unrolled: 1-line block ×7, first 2 shown]
	v_fmac_f32_e32 v65, 0xbee1c552, v69
	v_add_f32_e32 v70, v17, v90
	v_fmac_f32_e32 v71, 0xbee1c552, v52
	v_add_f32_e32 v53, v19, v90
	v_fmac_f32_e32 v64, 0xbee1c552, v69
	v_fmac_f32_e32 v55, 0xbee1c552, v52
	v_add_f32_e32 v52, v18, v56
	v_sub_f32_e32 v57, v97, v68
	v_add_f32_e32 v56, v89, v59
	v_lshl_add_u32 v58, v96, 3, v95
	v_add_f32_e32 v63, v68, v97
	v_sub_f32_e32 v62, v89, v59
	v_add_f32_e32 v17, v65, v70
	v_sub_f32_e32 v16, v54, v71
	v_sub_f32_e32 v19, v53, v64
	v_add_f32_e32 v18, v55, v52
	v_add_f32_e32 v53, v64, v53
	v_sub_f32_e32 v52, v52, v55
	v_sub_f32_e32 v55, v70, v65
	v_add_f32_e32 v54, v71, v54
	ds_write2_b64 v58, v[60:61], v[56:57] offset1:1
	ds_write2_b64 v58, v[54:55], v[52:53] offset0:2 offset1:3
	ds_write2_b64 v58, v[18:19], v[16:17] offset0:4 offset1:5
	ds_write_b64 v58, v[62:63] offset:48
.LBB0_13:
	s_or_b64 exec, exec, s[2:3]
	s_waitcnt lgkmcnt(0)
	s_barrier
	ds_read2_b64 v[55:58], v93 offset1:91
	v_add_u32_e32 v54, 0x400, v93
	ds_read2_b64 v[59:62], v54 offset0:54 offset1:145
	v_add_u32_e32 v19, 0x800, v93
	ds_read2_b64 v[63:66], v19 offset0:108 offset1:199
	;; [unrolled: 2-line block ×3, first 2 shown]
	s_waitcnt lgkmcnt(3)
	v_mul_f32_e32 v71, v21, v58
	v_mul_f32_e32 v21, v21, v57
	v_add_u32_e32 v18, 0x1400, v93
	v_fmac_f32_e32 v71, v20, v57
	v_fma_f32 v20, v20, v58, -v21
	s_waitcnt lgkmcnt(2)
	v_mul_f32_e32 v21, v23, v60
	v_mul_f32_e32 v23, v23, v59
	ds_read2_b64 v[89:92], v18 offset0:88 offset1:179
	v_fmac_f32_e32 v21, v22, v59
	v_fma_f32 v22, v22, v60, -v23
	v_mul_f32_e32 v23, v9, v62
	v_mul_f32_e32 v9, v9, v61
	v_fmac_f32_e32 v23, v8, v61
	v_fma_f32 v8, v8, v62, -v9
	s_waitcnt lgkmcnt(2)
	v_mul_f32_e32 v9, v11, v64
	v_mul_f32_e32 v11, v11, v63
	v_add_u32_e32 v52, 0x1800, v93
	v_fmac_f32_e32 v9, v10, v63
	v_fma_f32 v10, v10, v64, -v11
	v_mul_f32_e32 v11, v5, v66
	v_mul_f32_e32 v5, v5, v65
	ds_read2_b64 v[99:102], v52 offset0:142 offset1:233
	ds_read_b64 v[95:96], v93 offset:8736
	v_fmac_f32_e32 v11, v4, v65
	v_fma_f32 v4, v4, v66, -v5
	s_waitcnt lgkmcnt(3)
	v_mul_f32_e32 v5, v7, v68
	v_mul_f32_e32 v7, v7, v67
	v_fmac_f32_e32 v5, v6, v67
	v_fma_f32 v6, v6, v68, -v7
	v_mul_f32_e32 v7, v1, v70
	v_mul_f32_e32 v1, v1, v69
	v_fmac_f32_e32 v7, v0, v69
	v_fma_f32 v57, v0, v70, -v1
	s_waitcnt lgkmcnt(2)
	v_mul_f32_e32 v58, v3, v90
	v_mul_f32_e32 v0, v3, v89
	v_fmac_f32_e32 v58, v2, v89
	v_fma_f32 v2, v2, v90, -v0
	v_mul_f32_e32 v3, v25, v92
	v_mul_f32_e32 v0, v25, v91
	;; [unrolled: 9-line block ×3, first 2 shown]
	v_fmac_f32_e32 v27, v12, v101
	v_fma_f32 v12, v12, v102, -v0
	s_waitcnt lgkmcnt(0)
	v_mul_f32_e32 v13, v15, v96
	v_mul_f32_e32 v0, v15, v95
	v_add_f32_e32 v1, v56, v20
	v_fmac_f32_e32 v13, v14, v95
	v_fma_f32 v14, v14, v96, -v0
	v_add_f32_e32 v0, v55, v71
	v_add_f32_e32 v1, v1, v22
	;; [unrolled: 1-line block ×23, first 2 shown]
	v_sub_f32_e32 v14, v20, v14
	v_mad_u64_u32 v[16:17], s[2:3], s10, v82, 0
	v_add_f32_e32 v0, v0, v13
	v_add_f32_e32 v15, v71, v13
	v_sub_f32_e32 v13, v71, v13
	v_mul_f32_e32 v20, 0xbeedf032, v14
	v_mul_f32_e32 v63, 0xbf52af12, v14
	;; [unrolled: 1-line block ×6, first 2 shown]
	s_mov_b32 s4, 0x3f62ad3f
	v_mov_b32_e32 v60, v20
	v_mul_f32_e32 v61, 0x3f62ad3f, v59
	s_mov_b32 s3, 0x3f116cb1
	v_mov_b32_e32 v64, v63
	v_mul_f32_e32 v65, 0x3f116cb1, v59
	;; [unrolled: 3-line block ×6, first 2 shown]
	v_fmac_f32_e32 v60, 0x3f62ad3f, v15
	v_mov_b32_e32 v62, v61
	v_fma_f32 v20, v15, s4, -v20
	v_fmac_f32_e32 v64, 0x3f116cb1, v15
	v_mov_b32_e32 v66, v65
	v_fma_f32 v63, v15, s3, -v63
	;; [unrolled: 3-line block ×6, first 2 shown]
	v_add_f32_e32 v60, v55, v60
	v_fmac_f32_e32 v62, 0x3eedf032, v13
	v_add_f32_e32 v20, v55, v20
	v_fmac_f32_e32 v61, 0xbeedf032, v13
	;; [unrolled: 2-line block ×12, first 2 shown]
	v_add_f32_e32 v55, v22, v12
	v_sub_f32_e32 v12, v22, v12
	v_add_f32_e32 v62, v56, v62
	v_add_f32_e32 v61, v56, v61
	;; [unrolled: 1-line block ×13, first 2 shown]
	v_sub_f32_e32 v21, v21, v27
	v_mul_f32_e32 v22, 0xbf52af12, v12
	v_mul_f32_e32 v56, 0x3f116cb1, v55
	v_mov_b32_e32 v27, v22
	v_mov_b32_e32 v59, v56
	v_fma_f32 v22, v15, s3, -v22
	v_fmac_f32_e32 v56, 0xbf52af12, v21
	v_fmac_f32_e32 v27, 0x3f116cb1, v15
	v_add_f32_e32 v20, v22, v20
	v_add_f32_e32 v22, v56, v61
	v_mul_f32_e32 v56, 0xbf6f5d39, v12
	v_add_f32_e32 v27, v27, v60
	v_mov_b32_e32 v60, v56
	v_fma_f32 v56, v15, s5, -v56
	v_fmac_f32_e32 v59, 0x3f52af12, v21
	v_fmac_f32_e32 v60, 0xbeb58ec6, v15
	v_mul_f32_e32 v61, 0xbeb58ec6, v55
	v_add_f32_e32 v56, v56, v63
	v_mul_f32_e32 v63, 0xbe750f2a, v12
	v_add_f32_e32 v59, v59, v62
	v_add_f32_e32 v60, v60, v64
	v_mov_b32_e32 v62, v61
	v_fmac_f32_e32 v61, 0xbf6f5d39, v21
	v_mov_b32_e32 v64, v63
	v_fma_f32 v63, v15, s12, -v63
	v_fmac_f32_e32 v62, 0x3f6f5d39, v21
	v_add_f32_e32 v61, v61, v65
	v_fmac_f32_e32 v64, 0xbf788fa5, v15
	v_mul_f32_e32 v65, 0xbf788fa5, v55
	v_add_f32_e32 v63, v63, v67
	v_mul_f32_e32 v67, 0x3f29c268, v12
	v_add_f32_e32 v62, v62, v66
	v_add_f32_e32 v64, v64, v68
	v_mov_b32_e32 v66, v65
	v_fmac_f32_e32 v65, 0xbe750f2a, v21
	v_mov_b32_e32 v68, v67
	v_fma_f32 v67, v15, s10, -v67
	v_fmac_f32_e32 v66, 0x3e750f2a, v21
	v_add_f32_e32 v65, v65, v69
	v_fmac_f32_e32 v68, 0xbf3f9e67, v15
	v_mul_f32_e32 v69, 0xbf3f9e67, v55
	v_add_f32_e32 v67, v67, v71
	v_mul_f32_e32 v71, 0x3f7e222b, v12
	v_add_f32_e32 v66, v66, v70
	v_add_f32_e32 v68, v68, v89
	v_mov_b32_e32 v70, v69
	v_fmac_f32_e32 v69, 0x3f29c268, v21
	v_mov_b32_e32 v89, v71
	v_fma_f32 v71, v15, s2, -v71
	v_mul_f32_e32 v12, 0x3eedf032, v12
	v_fmac_f32_e32 v70, 0xbf29c268, v21
	v_add_f32_e32 v69, v69, v90
	v_fmac_f32_e32 v89, 0x3df6dbef, v15
	v_mul_f32_e32 v90, 0x3df6dbef, v55
	v_add_f32_e32 v71, v71, v92
	v_mov_b32_e32 v92, v12
	v_mul_f32_e32 v55, 0x3f62ad3f, v55
	v_add_f32_e32 v70, v70, v91
	v_add_f32_e32 v89, v89, v95
	v_mov_b32_e32 v91, v90
	v_fmac_f32_e32 v92, 0x3f62ad3f, v15
	v_mov_b32_e32 v95, v55
	v_fma_f32 v12, v15, s4, -v12
	v_add_f32_e32 v15, v8, v26
	v_sub_f32_e32 v8, v8, v26
	v_fmac_f32_e32 v91, 0xbf7e222b, v21
	v_fmac_f32_e32 v90, 0x3f7e222b, v21
	;; [unrolled: 1-line block ×3, first 2 shown]
	v_add_f32_e32 v12, v12, v14
	v_fmac_f32_e32 v55, 0x3eedf032, v21
	v_add_f32_e32 v14, v23, v25
	v_sub_f32_e32 v21, v23, v25
	v_mul_f32_e32 v23, 0xbf7e222b, v8
	v_mov_b32_e32 v25, v23
	v_fmac_f32_e32 v25, 0x3df6dbef, v14
	v_mul_f32_e32 v26, 0x3df6dbef, v15
	v_fma_f32 v23, v14, s2, -v23
	v_add_f32_e32 v25, v25, v27
	v_mov_b32_e32 v27, v26
	v_add_f32_e32 v20, v23, v20
	v_fmac_f32_e32 v26, 0xbf7e222b, v21
	v_mul_f32_e32 v23, 0xbe750f2a, v8
	v_add_f32_e32 v22, v26, v22
	v_mov_b32_e32 v26, v23
	v_fma_f32 v23, v14, s12, -v23
	v_add_f32_e32 v13, v55, v13
	v_fmac_f32_e32 v27, 0x3f7e222b, v21
	v_fmac_f32_e32 v26, 0xbf788fa5, v14
	v_mul_f32_e32 v55, 0xbf788fa5, v15
	v_add_f32_e32 v23, v23, v56
	v_mul_f32_e32 v56, 0x3f6f5d39, v8
	v_add_f32_e32 v27, v27, v59
	v_add_f32_e32 v26, v26, v60
	v_mov_b32_e32 v59, v55
	v_fmac_f32_e32 v55, 0xbe750f2a, v21
	v_mov_b32_e32 v60, v56
	v_fma_f32 v56, v14, s5, -v56
	v_fmac_f32_e32 v59, 0x3e750f2a, v21
	v_add_f32_e32 v55, v55, v61
	v_fmac_f32_e32 v60, 0xbeb58ec6, v14
	v_mul_f32_e32 v61, 0xbeb58ec6, v15
	v_add_f32_e32 v56, v56, v63
	v_mul_f32_e32 v63, 0x3eedf032, v8
	v_add_f32_e32 v59, v59, v62
	v_add_f32_e32 v60, v60, v64
	v_mov_b32_e32 v62, v61
	v_fmac_f32_e32 v61, 0x3f6f5d39, v21
	v_mov_b32_e32 v64, v63
	v_fma_f32 v63, v14, s4, -v63
	v_fmac_f32_e32 v62, 0xbf6f5d39, v21
	v_add_f32_e32 v61, v61, v65
	v_fmac_f32_e32 v64, 0x3f62ad3f, v14
	v_mul_f32_e32 v65, 0x3f62ad3f, v15
	v_add_f32_e32 v63, v63, v67
	v_mul_f32_e32 v67, 0xbf52af12, v8
	v_add_f32_e32 v62, v62, v66
	v_add_f32_e32 v64, v64, v68
	v_mov_b32_e32 v66, v65
	v_fmac_f32_e32 v65, 0x3eedf032, v21
	v_mov_b32_e32 v68, v67
	v_add_f32_e32 v65, v65, v69
	v_fmac_f32_e32 v68, 0x3f116cb1, v14
	v_mul_f32_e32 v69, 0x3f116cb1, v15
	v_fma_f32 v67, v14, s3, -v67
	v_mul_f32_e32 v8, 0xbf29c268, v8
	v_mul_f32_e32 v15, 0xbf3f9e67, v15
	v_fmac_f32_e32 v66, 0xbeedf032, v21
	v_add_f32_e32 v68, v68, v89
	v_add_f32_e32 v67, v67, v71
	v_mov_b32_e32 v71, v8
	v_mov_b32_e32 v89, v15
	v_fma_f32 v8, v14, s10, -v8
	v_fmac_f32_e32 v15, 0xbf29c268, v21
	v_add_f32_e32 v66, v66, v70
	v_mov_b32_e32 v70, v69
	v_fmac_f32_e32 v71, 0xbf3f9e67, v14
	v_add_f32_e32 v8, v8, v12
	v_add_f32_e32 v12, v15, v13
	;; [unrolled: 1-line block ×4, first 2 shown]
	v_sub_f32_e32 v3, v9, v3
	v_sub_f32_e32 v9, v10, v24
	v_fmac_f32_e32 v70, 0x3f52af12, v21
	v_fmac_f32_e32 v69, 0xbf52af12, v21
	;; [unrolled: 1-line block ×3, first 2 shown]
	v_mul_f32_e32 v10, 0xbf6f5d39, v9
	v_mul_f32_e32 v21, 0xbeb58ec6, v14
	v_mov_b32_e32 v15, v10
	v_mov_b32_e32 v24, v21
	v_fma_f32 v10, v13, s5, -v10
	v_fmac_f32_e32 v21, 0xbf6f5d39, v3
	v_add_f32_e32 v10, v10, v20
	v_add_f32_e32 v20, v21, v22
	v_mul_f32_e32 v21, 0x3f29c268, v9
	v_fmac_f32_e32 v15, 0xbeb58ec6, v13
	v_mov_b32_e32 v22, v21
	v_add_f32_e32 v15, v15, v25
	v_fmac_f32_e32 v22, 0xbf3f9e67, v13
	v_mul_f32_e32 v25, 0xbf3f9e67, v14
	v_add_f32_e32 v22, v22, v26
	v_mov_b32_e32 v26, v25
	v_fma_f32 v21, v13, s10, -v21
	v_fmac_f32_e32 v25, 0x3f29c268, v3
	v_fmac_f32_e32 v24, 0x3f6f5d39, v3
	v_add_f32_e32 v21, v21, v23
	v_add_f32_e32 v23, v25, v55
	v_mul_f32_e32 v25, 0x3eedf032, v9
	v_add_f32_e32 v24, v24, v27
	v_mov_b32_e32 v27, v25
	v_fma_f32 v25, v13, s4, -v25
	v_fmac_f32_e32 v26, 0xbf29c268, v3
	v_fmac_f32_e32 v27, 0x3f62ad3f, v13
	v_mul_f32_e32 v55, 0x3f62ad3f, v14
	v_add_f32_e32 v25, v25, v56
	v_mul_f32_e32 v56, 0xbf7e222b, v9
	v_add_f32_e32 v26, v26, v59
	v_add_f32_e32 v27, v27, v60
	v_mov_b32_e32 v59, v55
	v_fmac_f32_e32 v55, 0x3eedf032, v3
	v_mov_b32_e32 v60, v56
	v_fma_f32 v56, v13, s2, -v56
	v_fmac_f32_e32 v59, 0xbeedf032, v3
	v_add_f32_e32 v55, v55, v61
	v_fmac_f32_e32 v60, 0x3df6dbef, v13
	v_mul_f32_e32 v61, 0x3df6dbef, v14
	v_add_f32_e32 v56, v56, v63
	v_mul_f32_e32 v63, 0x3e750f2a, v9
	v_add_f32_e32 v59, v59, v62
	v_add_f32_e32 v60, v60, v64
	v_mov_b32_e32 v62, v61
	v_fmac_f32_e32 v61, 0xbf7e222b, v3
	v_mov_b32_e32 v64, v63
	v_fmac_f32_e32 v62, 0x3f7e222b, v3
	v_add_f32_e32 v61, v61, v65
	v_fmac_f32_e32 v64, 0xbf788fa5, v13
	v_mul_f32_e32 v65, 0xbf788fa5, v14
	v_mul_f32_e32 v14, 0x3f116cb1, v14
	v_add_f32_e32 v62, v62, v66
	v_add_f32_e32 v64, v64, v68
	v_mov_b32_e32 v66, v65
	v_mov_b32_e32 v68, v14
	v_fmac_f32_e32 v14, 0x3f52af12, v3
	v_fmac_f32_e32 v66, 0xbe750f2a, v3
	v_fma_f32 v63, v13, s12, -v63
	v_fmac_f32_e32 v65, 0x3e750f2a, v3
	v_mul_f32_e32 v9, 0x3f52af12, v9
	v_fmac_f32_e32 v68, 0xbf52af12, v3
	v_add_f32_e32 v3, v14, v12
	v_add_f32_e32 v12, v4, v2
	v_sub_f32_e32 v2, v4, v2
	v_add_f32_e32 v63, v63, v67
	v_mov_b32_e32 v67, v9
	v_fma_f32 v9, v13, s3, -v9
	v_mul_f32_e32 v4, 0xbf29c268, v2
	v_fmac_f32_e32 v67, 0x3f116cb1, v13
	v_add_f32_e32 v8, v9, v8
	v_add_f32_e32 v9, v11, v58
	v_mov_b32_e32 v13, v4
	v_sub_f32_e32 v11, v11, v58
	v_fmac_f32_e32 v13, 0xbf3f9e67, v9
	v_mul_f32_e32 v14, 0xbf3f9e67, v12
	v_add_f32_e32 v13, v13, v15
	v_mov_b32_e32 v15, v14
	v_fma_f32 v4, v9, s10, -v4
	v_fmac_f32_e32 v14, 0xbf29c268, v11
	v_add_f32_e32 v4, v4, v10
	v_add_f32_e32 v10, v14, v20
	v_mul_f32_e32 v14, 0x3f7e222b, v2
	v_mov_b32_e32 v20, v14
	v_fmac_f32_e32 v20, 0x3df6dbef, v9
	v_fmac_f32_e32 v15, 0x3f29c268, v11
	v_add_f32_e32 v20, v20, v22
	v_mul_f32_e32 v22, 0x3df6dbef, v12
	v_add_f32_e32 v15, v15, v24
	v_mov_b32_e32 v24, v22
	v_fma_f32 v14, v9, s2, -v14
	v_fmac_f32_e32 v22, 0x3f7e222b, v11
	v_add_f32_e32 v14, v14, v21
	v_add_f32_e32 v21, v22, v23
	v_mul_f32_e32 v22, 0xbf52af12, v2
	v_fmac_f32_e32 v24, 0xbf7e222b, v11
	v_mov_b32_e32 v23, v22
	v_add_f32_e32 v24, v24, v26
	v_fmac_f32_e32 v23, 0x3f116cb1, v9
	v_mul_f32_e32 v26, 0x3f116cb1, v12
	v_add_f32_e32 v23, v23, v27
	v_mov_b32_e32 v27, v26
	v_fma_f32 v22, v9, s3, -v22
	v_fmac_f32_e32 v26, 0xbf52af12, v11
	v_fmac_f32_e32 v27, 0x3f52af12, v11
	v_add_f32_e32 v22, v22, v25
	v_add_f32_e32 v25, v26, v55
	v_mul_f32_e32 v26, 0x3e750f2a, v2
	v_mul_f32_e32 v58, 0xbf788fa5, v12
	v_add_f32_e32 v27, v27, v59
	v_mov_b32_e32 v55, v26
	v_mov_b32_e32 v59, v58
	v_fma_f32 v26, v9, s12, -v26
	v_fmac_f32_e32 v58, 0x3e750f2a, v11
	v_fmac_f32_e32 v55, 0xbf788fa5, v9
	v_add_f32_e32 v26, v26, v56
	v_add_f32_e32 v56, v58, v61
	v_mul_f32_e32 v58, 0x3eedf032, v2
	v_add_f32_e32 v55, v55, v60
	v_mov_b32_e32 v60, v58
	v_add_f32_e32 v95, v95, v100
	v_fmac_f32_e32 v60, 0x3f62ad3f, v9
	v_mul_f32_e32 v61, 0x3f62ad3f, v12
	v_mul_f32_e32 v12, 0xbeb58ec6, v12
	v_add_f32_e32 v92, v92, v99
	v_add_f32_e32 v89, v89, v95
	;; [unrolled: 1-line block ×3, first 2 shown]
	v_fma_f32 v58, v9, s4, -v58
	v_mul_f32_e32 v2, 0xbf6f5d39, v2
	v_mov_b32_e32 v64, v12
	v_add_f32_e32 v91, v91, v97
	v_add_f32_e32 v90, v90, v96
	;; [unrolled: 1-line block ×4, first 2 shown]
	v_fmac_f32_e32 v59, 0xbe750f2a, v11
	v_add_f32_e32 v58, v58, v63
	v_mov_b32_e32 v63, v2
	v_fmac_f32_e32 v64, 0x3f6f5d39, v11
	v_add_f32_e32 v70, v70, v91
	v_add_f32_e32 v69, v69, v90
	;; [unrolled: 1-line block ×4, first 2 shown]
	v_mov_b32_e32 v62, v61
	v_fmac_f32_e32 v63, 0xbeb58ec6, v9
	v_add_f32_e32 v64, v64, v68
	v_add_f32_e32 v68, v6, v57
	v_sub_f32_e32 v57, v6, v57
	v_add_f32_e32 v66, v66, v70
	v_add_f32_e32 v65, v65, v69
	v_fmac_f32_e32 v62, 0xbeedf032, v11
	v_fmac_f32_e32 v61, 0x3eedf032, v11
	v_add_f32_e32 v63, v63, v67
	v_fma_f32 v2, v9, s5, -v2
	v_fmac_f32_e32 v12, 0xbf6f5d39, v11
	v_add_f32_e32 v67, v5, v7
	v_sub_f32_e32 v69, v5, v7
	v_mul_f32_e32 v5, 0xbe750f2a, v57
	v_mul_f32_e32 v6, 0xbf788fa5, v68
	v_add_f32_e32 v62, v62, v66
	v_add_f32_e32 v61, v61, v65
	;; [unrolled: 1-line block ×4, first 2 shown]
	v_mov_b32_e32 v2, v5
	v_mov_b32_e32 v3, v6
	v_fma_f32 v5, v67, s12, -v5
	v_fmac_f32_e32 v6, 0xbe750f2a, v69
	v_mul_f32_e32 v8, 0x3eedf032, v57
	v_add_f32_e32 v4, v5, v4
	v_add_f32_e32 v5, v6, v10
	v_mov_b32_e32 v6, v8
	v_fmac_f32_e32 v6, 0x3f62ad3f, v67
	v_mul_f32_e32 v9, 0x3f62ad3f, v68
	v_fmac_f32_e32 v2, 0xbf788fa5, v67
	v_add_f32_e32 v6, v6, v20
	v_mov_b32_e32 v7, v9
	v_fma_f32 v8, v67, s4, -v8
	v_fmac_f32_e32 v9, 0x3eedf032, v69
	v_mul_f32_e32 v20, 0x3f52af12, v57
	v_add_f32_e32 v2, v2, v13
	v_fmac_f32_e32 v3, 0x3e750f2a, v69
	v_add_f32_e32 v8, v8, v14
	v_add_f32_e32 v9, v9, v21
	v_mul_f32_e32 v12, 0xbf29c268, v57
	v_mul_f32_e32 v13, 0xbf3f9e67, v68
	v_mov_b32_e32 v14, v20
	v_mul_f32_e32 v21, 0x3f116cb1, v68
	v_add_f32_e32 v3, v3, v15
	v_fmac_f32_e32 v7, 0xbeedf032, v69
	v_mov_b32_e32 v10, v12
	v_mov_b32_e32 v11, v13
	v_fmac_f32_e32 v13, 0xbf29c268, v69
	v_fmac_f32_e32 v14, 0x3f116cb1, v67
	v_mov_b32_e32 v15, v21
	v_fmac_f32_e32 v21, 0x3f52af12, v69
	v_add_f32_e32 v7, v7, v24
	v_fmac_f32_e32 v10, 0xbf3f9e67, v67
	v_fmac_f32_e32 v11, 0x3f29c268, v69
	v_fma_f32 v12, v67, s10, -v12
	v_add_f32_e32 v13, v13, v25
	v_add_f32_e32 v14, v14, v55
	v_fma_f32 v20, v67, s3, -v20
	v_add_f32_e32 v21, v21, v56
	v_mul_f32_e32 v24, 0xbf6f5d39, v57
	v_mul_f32_e32 v25, 0xbeb58ec6, v68
	;; [unrolled: 1-line block ×4, first 2 shown]
	v_add_f32_e32 v10, v10, v23
	v_add_f32_e32 v11, v11, v27
	;; [unrolled: 1-line block ×4, first 2 shown]
	v_mov_b32_e32 v22, v24
	v_mov_b32_e32 v23, v25
	;; [unrolled: 1-line block ×4, first 2 shown]
	v_fmac_f32_e32 v15, 0xbf52af12, v69
	v_fmac_f32_e32 v22, 0xbeb58ec6, v67
	;; [unrolled: 1-line block ×3, first 2 shown]
	v_fma_f32 v24, v67, s5, -v24
	v_fmac_f32_e32 v25, 0xbf6f5d39, v69
	v_fmac_f32_e32 v26, 0x3df6dbef, v67
	;; [unrolled: 1-line block ×3, first 2 shown]
	v_fma_f32 v55, v67, s2, -v55
	v_fmac_f32_e32 v56, 0x3f7e222b, v69
	v_add_f32_e32 v15, v15, v59
	v_add_f32_e32 v22, v22, v60
	;; [unrolled: 1-line block ×9, first 2 shown]
	s_barrier
	ds_write2_b64 v98, v[0:1], v[2:3] offset1:7
	ds_write2_b64 v98, v[6:7], v[10:11] offset0:14 offset1:21
	ds_write2_b64 v98, v[14:15], v[22:23] offset0:28 offset1:35
	;; [unrolled: 1-line block ×5, first 2 shown]
	ds_write_b64 v98, v[4:5] offset:672
	s_waitcnt lgkmcnt(0)
	s_barrier
	ds_read2_b64 v[0:3], v93 offset1:91
	ds_read2_b64 v[4:7], v54 offset0:54 offset1:145
	ds_read2_b64 v[8:11], v19 offset0:108 offset1:199
	;; [unrolled: 1-line block ×5, first 2 shown]
	ds_read_b64 v[55:56], v93 offset:8736
	s_waitcnt lgkmcnt(6)
	v_mul_f32_e32 v57, v41, v3
	v_fmac_f32_e32 v57, v40, v2
	v_mul_f32_e32 v2, v41, v2
	v_fma_f32 v40, v40, v3, -v2
	s_waitcnt lgkmcnt(5)
	v_mul_f32_e32 v41, v43, v5
	v_mul_f32_e32 v2, v43, v4
	v_fmac_f32_e32 v41, v42, v4
	v_fma_f32 v4, v42, v5, -v2
	v_mul_f32_e32 v5, v37, v7
	v_mul_f32_e32 v2, v37, v6
	v_fmac_f32_e32 v5, v36, v6
	v_fma_f32 v6, v36, v7, -v2
	s_waitcnt lgkmcnt(4)
	v_mul_f32_e32 v7, v39, v9
	v_mul_f32_e32 v2, v39, v8
	v_fmac_f32_e32 v7, v38, v8
	v_fma_f32 v8, v38, v9, -v2
	v_mul_f32_e32 v9, v33, v11
	v_mul_f32_e32 v2, v33, v10
	v_fmac_f32_e32 v9, v32, v10
	v_fma_f32 v10, v32, v11, -v2
	s_waitcnt lgkmcnt(3)
	v_mul_f32_e32 v11, v35, v13
	v_mul_f32_e32 v2, v35, v12
	v_fmac_f32_e32 v11, v34, v12
	v_fma_f32 v12, v34, v13, -v2
	v_mul_f32_e32 v13, v29, v15
	v_mul_f32_e32 v2, v29, v14
	v_fmac_f32_e32 v13, v28, v14
	v_fma_f32 v14, v28, v15, -v2
	s_waitcnt lgkmcnt(2)
	v_mul_f32_e32 v15, v31, v21
	v_mul_f32_e32 v2, v31, v20
	v_add_f32_e32 v3, v1, v40
	v_fmac_f32_e32 v15, v30, v20
	v_fma_f32 v20, v30, v21, -v2
	v_mul_f32_e32 v21, v45, v23
	v_mul_f32_e32 v2, v45, v22
	v_add_f32_e32 v3, v3, v4
	v_fmac_f32_e32 v21, v44, v22
	v_fma_f32 v22, v44, v23, -v2
	s_waitcnt lgkmcnt(1)
	v_mul_f32_e32 v23, v47, v25
	v_mul_f32_e32 v2, v47, v24
	v_add_f32_e32 v3, v3, v6
	v_fmac_f32_e32 v23, v46, v24
	v_fma_f32 v24, v46, v25, -v2
	v_mul_f32_e32 v25, v49, v27
	v_mul_f32_e32 v2, v49, v26
	v_add_f32_e32 v3, v3, v8
	v_fmac_f32_e32 v25, v48, v26
	v_fma_f32 v26, v48, v27, -v2
	s_waitcnt lgkmcnt(0)
	v_mul_f32_e32 v2, v51, v55
	v_add_f32_e32 v3, v3, v10
	v_fma_f32 v28, v50, v56, -v2
	v_add_f32_e32 v2, v0, v57
	v_add_f32_e32 v3, v3, v12
	;; [unrolled: 1-line block ×12, first 2 shown]
	v_mul_f32_e32 v27, v51, v56
	v_add_f32_e32 v2, v2, v13
	v_add_f32_e32 v3, v3, v28
	;; [unrolled: 1-line block ×3, first 2 shown]
	v_sub_f32_e32 v28, v40, v28
	v_fmac_f32_e32 v27, v50, v55
	v_add_f32_e32 v2, v2, v15
	v_mul_f32_e32 v31, 0xbeedf032, v28
	v_mul_f32_e32 v35, 0xbf52af12, v28
	;; [unrolled: 1-line block ×6, first 2 shown]
	v_add_f32_e32 v2, v2, v21
	v_add_f32_e32 v29, v57, v27
	v_mov_b32_e32 v32, v31
	v_mov_b32_e32 v36, v35
	;; [unrolled: 1-line block ×6, first 2 shown]
	v_add_f32_e32 v2, v2, v23
	v_fmac_f32_e32 v32, 0x3f62ad3f, v29
	v_fma_f32 v31, v29, s4, -v31
	v_fmac_f32_e32 v36, 0x3f116cb1, v29
	v_fma_f32 v35, v29, s3, -v35
	;; [unrolled: 2-line block ×6, first 2 shown]
	v_add_f32_e32 v2, v2, v25
	v_add_f32_e32 v32, v0, v32
	v_mul_f32_e32 v33, 0x3f62ad3f, v30
	v_add_f32_e32 v31, v0, v31
	v_add_f32_e32 v36, v0, v36
	v_mul_f32_e32 v37, 0x3f116cb1, v30
	;; [unrolled: 3-line block ×6, first 2 shown]
	v_add_f32_e32 v0, v0, v28
	v_add_f32_e32 v28, v4, v26
	v_sub_f32_e32 v4, v4, v26
	v_add_f32_e32 v2, v2, v27
	v_sub_f32_e32 v27, v57, v27
	v_mov_b32_e32 v34, v33
	v_mov_b32_e32 v38, v37
	;; [unrolled: 1-line block ×6, first 2 shown]
	v_mul_f32_e32 v26, 0xbf52af12, v4
	v_fmac_f32_e32 v34, 0x3eedf032, v27
	v_fmac_f32_e32 v33, 0xbeedf032, v27
	;; [unrolled: 1-line block ×12, first 2 shown]
	v_add_f32_e32 v27, v41, v25
	v_mov_b32_e32 v29, v26
	v_add_f32_e32 v34, v1, v34
	v_add_f32_e32 v33, v1, v33
	;; [unrolled: 1-line block ×12, first 2 shown]
	v_sub_f32_e32 v25, v41, v25
	v_fmac_f32_e32 v29, 0x3f116cb1, v27
	v_mul_f32_e32 v30, 0x3f116cb1, v28
	v_fma_f32 v26, v27, s3, -v26
	v_add_f32_e32 v29, v29, v32
	v_mov_b32_e32 v32, v30
	v_add_f32_e32 v26, v26, v31
	v_fmac_f32_e32 v30, 0xbf52af12, v25
	v_mul_f32_e32 v31, 0xbf6f5d39, v4
	v_fmac_f32_e32 v32, 0x3f52af12, v25
	v_add_f32_e32 v30, v30, v33
	v_mov_b32_e32 v33, v31
	v_add_f32_e32 v32, v32, v34
	v_fmac_f32_e32 v33, 0xbeb58ec6, v27
	v_mul_f32_e32 v34, 0xbeb58ec6, v28
	v_fma_f32 v31, v27, s5, -v31
	v_add_f32_e32 v33, v33, v36
	v_mov_b32_e32 v36, v34
	v_add_f32_e32 v31, v31, v35
	v_fmac_f32_e32 v34, 0xbf6f5d39, v25
	v_mul_f32_e32 v35, 0xbe750f2a, v4
	v_fmac_f32_e32 v36, 0x3f6f5d39, v25
	v_add_f32_e32 v34, v34, v37
	v_mov_b32_e32 v37, v35
	v_fma_f32 v35, v27, s12, -v35
	v_add_f32_e32 v36, v36, v38
	v_fmac_f32_e32 v37, 0xbf788fa5, v27
	v_mul_f32_e32 v38, 0xbf788fa5, v28
	v_add_f32_e32 v35, v35, v39
	v_mul_f32_e32 v39, 0x3f29c268, v4
	v_add_f32_e32 v37, v37, v40
	v_mov_b32_e32 v40, v38
	v_fmac_f32_e32 v38, 0xbe750f2a, v25
	v_mov_b32_e32 v41, v39
	v_fma_f32 v39, v27, s10, -v39
	v_fmac_f32_e32 v40, 0x3e750f2a, v25
	v_add_f32_e32 v38, v38, v42
	v_fmac_f32_e32 v41, 0xbf3f9e67, v27
	v_mul_f32_e32 v42, 0xbf3f9e67, v28
	v_add_f32_e32 v39, v39, v44
	v_mul_f32_e32 v44, 0x3f7e222b, v4
	v_add_f32_e32 v40, v40, v43
	v_add_f32_e32 v41, v41, v45
	v_mov_b32_e32 v43, v42
	v_fmac_f32_e32 v42, 0x3f29c268, v25
	v_mov_b32_e32 v45, v44
	v_fmac_f32_e32 v43, 0xbf29c268, v25
	v_add_f32_e32 v42, v42, v46
	v_fmac_f32_e32 v45, 0x3df6dbef, v27
	v_mul_f32_e32 v46, 0x3df6dbef, v28
	v_mul_f32_e32 v28, 0x3f62ad3f, v28
	v_add_f32_e32 v43, v43, v47
	v_add_f32_e32 v45, v45, v49
	v_mov_b32_e32 v47, v46
	v_fma_f32 v44, v27, s2, -v44
	v_mul_f32_e32 v4, 0x3eedf032, v4
	v_mov_b32_e32 v49, v28
	v_fmac_f32_e32 v47, 0xbf7e222b, v25
	v_add_f32_e32 v44, v44, v48
	v_fmac_f32_e32 v46, 0x3f7e222b, v25
	v_mov_b32_e32 v48, v4
	v_fmac_f32_e32 v49, 0xbeedf032, v25
	v_fma_f32 v4, v27, s4, -v4
	v_fmac_f32_e32 v28, 0x3eedf032, v25
	v_add_f32_e32 v25, v6, v24
	v_sub_f32_e32 v6, v6, v24
	v_fmac_f32_e32 v48, 0x3f62ad3f, v27
	v_add_f32_e32 v0, v4, v0
	v_add_f32_e32 v4, v5, v23
	v_sub_f32_e32 v5, v5, v23
	v_mul_f32_e32 v23, 0xbf7e222b, v6
	v_mul_f32_e32 v27, 0x3df6dbef, v25
	v_add_f32_e32 v1, v28, v1
	v_mov_b32_e32 v24, v23
	v_mov_b32_e32 v28, v27
	v_fma_f32 v23, v4, s2, -v23
	v_fmac_f32_e32 v27, 0xbf7e222b, v5
	v_fmac_f32_e32 v24, 0x3df6dbef, v4
	v_add_f32_e32 v23, v23, v26
	v_add_f32_e32 v26, v27, v30
	v_mul_f32_e32 v27, 0xbe750f2a, v6
	v_add_f32_e32 v24, v24, v29
	v_mov_b32_e32 v29, v27
	v_fma_f32 v27, v4, s12, -v27
	v_fmac_f32_e32 v29, 0xbf788fa5, v4
	v_add_f32_e32 v27, v27, v31
	v_mul_f32_e32 v31, 0x3f6f5d39, v6
	v_fmac_f32_e32 v28, 0x3f7e222b, v5
	v_add_f32_e32 v29, v29, v33
	v_mul_f32_e32 v30, 0xbf788fa5, v25
	v_mov_b32_e32 v33, v31
	v_fma_f32 v31, v4, s5, -v31
	v_add_f32_e32 v28, v28, v32
	v_mov_b32_e32 v32, v30
	v_fmac_f32_e32 v30, 0xbe750f2a, v5
	v_fmac_f32_e32 v33, 0xbeb58ec6, v4
	v_add_f32_e32 v31, v31, v35
	v_mul_f32_e32 v35, 0x3eedf032, v6
	v_fmac_f32_e32 v32, 0x3e750f2a, v5
	v_add_f32_e32 v30, v30, v34
	v_add_f32_e32 v33, v33, v37
	v_mul_f32_e32 v34, 0xbeb58ec6, v25
	v_mov_b32_e32 v37, v35
	v_fma_f32 v35, v4, s4, -v35
	v_add_f32_e32 v32, v32, v36
	v_mov_b32_e32 v36, v34
	v_fmac_f32_e32 v34, 0x3f6f5d39, v5
	v_fmac_f32_e32 v37, 0x3f62ad3f, v4
	v_add_f32_e32 v35, v35, v39
	v_mul_f32_e32 v39, 0xbf52af12, v6
	v_fmac_f32_e32 v36, 0xbf6f5d39, v5
	v_add_f32_e32 v34, v34, v38
	v_add_f32_e32 v37, v37, v41
	v_mul_f32_e32 v38, 0x3f62ad3f, v25
	v_mov_b32_e32 v41, v39
	v_fma_f32 v39, v4, s3, -v39
	v_mul_f32_e32 v6, 0xbf29c268, v6
	v_add_f32_e32 v36, v36, v40
	v_mov_b32_e32 v40, v38
	v_fmac_f32_e32 v38, 0x3eedf032, v5
	v_add_f32_e32 v39, v39, v44
	v_mov_b32_e32 v44, v6
	v_fmac_f32_e32 v40, 0xbeedf032, v5
	v_add_f32_e32 v38, v38, v42
	v_fmac_f32_e32 v41, 0x3f116cb1, v4
	v_mul_f32_e32 v42, 0x3f116cb1, v25
	v_fmac_f32_e32 v44, 0xbf3f9e67, v4
	v_mul_f32_e32 v25, 0xbf3f9e67, v25
	v_fma_f32 v4, v4, s10, -v6
	v_add_f32_e32 v40, v40, v43
	v_add_f32_e32 v41, v41, v45
	v_mov_b32_e32 v43, v42
	v_mov_b32_e32 v45, v25
	v_add_f32_e32 v0, v4, v0
	v_add_f32_e32 v4, v7, v21
	v_sub_f32_e32 v6, v7, v21
	v_sub_f32_e32 v7, v8, v22
	v_fmac_f32_e32 v43, 0x3f52af12, v5
	v_fmac_f32_e32 v42, 0xbf52af12, v5
	;; [unrolled: 1-line block ×4, first 2 shown]
	v_add_f32_e32 v5, v8, v22
	v_mul_f32_e32 v8, 0xbf6f5d39, v7
	v_mov_b32_e32 v21, v8
	v_fma_f32 v8, v4, s5, -v8
	v_fmac_f32_e32 v21, 0xbeb58ec6, v4
	v_mul_f32_e32 v22, 0xbeb58ec6, v5
	v_add_f32_e32 v8, v8, v23
	v_mul_f32_e32 v23, 0x3f29c268, v7
	v_add_f32_e32 v1, v25, v1
	v_add_f32_e32 v21, v21, v24
	v_mov_b32_e32 v24, v22
	v_fmac_f32_e32 v22, 0xbf6f5d39, v6
	v_mov_b32_e32 v25, v23
	v_fma_f32 v23, v4, s10, -v23
	v_fmac_f32_e32 v24, 0x3f6f5d39, v6
	v_add_f32_e32 v22, v22, v26
	v_fmac_f32_e32 v25, 0xbf3f9e67, v4
	v_mul_f32_e32 v26, 0xbf3f9e67, v5
	v_add_f32_e32 v23, v23, v27
	v_mul_f32_e32 v27, 0x3eedf032, v7
	v_add_f32_e32 v24, v24, v28
	v_add_f32_e32 v25, v25, v29
	v_mov_b32_e32 v28, v26
	v_fmac_f32_e32 v26, 0x3f29c268, v6
	v_mov_b32_e32 v29, v27
	v_fma_f32 v27, v4, s4, -v27
	v_fmac_f32_e32 v28, 0xbf29c268, v6
	v_add_f32_e32 v26, v26, v30
	;; [unrolled: 12-line block ×3, first 2 shown]
	v_fmac_f32_e32 v33, 0x3df6dbef, v4
	v_mul_f32_e32 v34, 0x3df6dbef, v5
	v_add_f32_e32 v31, v31, v35
	v_mul_f32_e32 v35, 0x3e750f2a, v7
	v_add_f32_e32 v32, v32, v36
	v_add_f32_e32 v33, v33, v37
	v_mov_b32_e32 v36, v34
	v_fmac_f32_e32 v34, 0xbf7e222b, v6
	v_mov_b32_e32 v37, v35
	v_add_f32_e32 v34, v34, v38
	v_fmac_f32_e32 v37, 0xbf788fa5, v4
	v_mul_f32_e32 v38, 0xbf788fa5, v5
	v_fma_f32 v35, v4, s12, -v35
	v_mul_f32_e32 v7, 0x3f52af12, v7
	v_mul_f32_e32 v5, 0x3f116cb1, v5
	v_fmac_f32_e32 v36, 0x3f7e222b, v6
	v_add_f32_e32 v37, v37, v41
	v_add_f32_e32 v35, v35, v39
	v_mov_b32_e32 v39, v7
	v_mov_b32_e32 v41, v5
	v_fmac_f32_e32 v5, 0x3f52af12, v6
	v_add_f32_e32 v36, v36, v40
	v_mov_b32_e32 v40, v38
	v_fmac_f32_e32 v39, 0x3f116cb1, v4
	v_fma_f32 v4, v4, s3, -v7
	v_add_f32_e32 v1, v5, v1
	v_add_f32_e32 v5, v10, v20
	v_sub_f32_e32 v7, v10, v20
	v_fmac_f32_e32 v40, 0xbe750f2a, v6
	v_fmac_f32_e32 v38, 0x3e750f2a, v6
	;; [unrolled: 1-line block ×3, first 2 shown]
	v_add_f32_e32 v0, v4, v0
	v_add_f32_e32 v4, v9, v15
	v_sub_f32_e32 v6, v9, v15
	v_mul_f32_e32 v9, 0xbf29c268, v7
	v_mul_f32_e32 v15, 0xbf3f9e67, v5
	v_mov_b32_e32 v10, v9
	v_mov_b32_e32 v20, v15
	v_fma_f32 v9, v4, s10, -v9
	v_fmac_f32_e32 v15, 0xbf29c268, v6
	v_fmac_f32_e32 v10, 0xbf3f9e67, v4
	v_add_f32_e32 v8, v9, v8
	v_add_f32_e32 v9, v15, v22
	v_mul_f32_e32 v15, 0x3f7e222b, v7
	v_add_f32_e32 v10, v10, v21
	v_mov_b32_e32 v21, v15
	v_fma_f32 v15, v4, s2, -v15
	v_fmac_f32_e32 v20, 0x3f29c268, v6
	v_fmac_f32_e32 v21, 0x3df6dbef, v4
	v_mul_f32_e32 v22, 0x3df6dbef, v5
	v_add_f32_e32 v15, v15, v23
	v_mul_f32_e32 v23, 0xbf52af12, v7
	v_add_f32_e32 v20, v20, v24
	v_add_f32_e32 v21, v21, v25
	v_mov_b32_e32 v24, v22
	v_fmac_f32_e32 v22, 0x3f7e222b, v6
	v_mov_b32_e32 v25, v23
	v_fma_f32 v23, v4, s3, -v23
	v_fmac_f32_e32 v24, 0xbf7e222b, v6
	v_add_f32_e32 v22, v22, v26
	v_fmac_f32_e32 v25, 0x3f116cb1, v4
	v_mul_f32_e32 v26, 0x3f116cb1, v5
	v_add_f32_e32 v23, v23, v27
	v_mul_f32_e32 v27, 0x3e750f2a, v7
	v_add_f32_e32 v24, v24, v28
	v_add_f32_e32 v25, v25, v29
	v_mov_b32_e32 v28, v26
	v_fmac_f32_e32 v26, 0xbf52af12, v6
	v_mov_b32_e32 v29, v27
	v_fma_f32 v27, v4, s12, -v27
	v_fmac_f32_e32 v28, 0x3f52af12, v6
	v_add_f32_e32 v26, v26, v30
	v_fmac_f32_e32 v29, 0xbf788fa5, v4
	v_mul_f32_e32 v30, 0xbf788fa5, v5
	v_add_f32_e32 v27, v27, v31
	v_mul_f32_e32 v31, 0x3eedf032, v7
	v_add_f32_e32 v28, v28, v32
	v_add_f32_e32 v29, v29, v33
	v_mov_b32_e32 v32, v30
	v_fmac_f32_e32 v30, 0x3e750f2a, v6
	v_mov_b32_e32 v33, v31
	v_add_f32_e32 v49, v49, v56
	v_add_f32_e32 v30, v30, v34
	v_fmac_f32_e32 v33, 0x3f62ad3f, v4
	v_mul_f32_e32 v34, 0x3f62ad3f, v5
	v_mul_f32_e32 v5, 0xbeb58ec6, v5
	v_add_f32_e32 v48, v48, v55
	v_add_f32_e32 v45, v45, v49
	v_add_f32_e32 v33, v33, v37
	v_fma_f32 v31, v4, s4, -v31
	v_mul_f32_e32 v7, 0xbf6f5d39, v7
	v_mov_b32_e32 v37, v5
	v_add_f32_e32 v47, v47, v51
	v_add_f32_e32 v46, v46, v50
	;; [unrolled: 1-line block ×4, first 2 shown]
	v_fmac_f32_e32 v32, 0xbe750f2a, v6
	v_add_f32_e32 v31, v31, v35
	v_mov_b32_e32 v35, v7
	v_fmac_f32_e32 v37, 0x3f6f5d39, v6
	v_add_f32_e32 v43, v43, v47
	v_add_f32_e32 v42, v42, v46
	;; [unrolled: 1-line block ×4, first 2 shown]
	v_mov_b32_e32 v36, v34
	v_fmac_f32_e32 v35, 0xbeb58ec6, v4
	v_add_f32_e32 v37, v37, v41
	v_fmac_f32_e32 v5, 0xbf6f5d39, v6
	v_add_f32_e32 v41, v12, v14
	v_add_f32_e32 v40, v40, v43
	;; [unrolled: 1-line block ×3, first 2 shown]
	v_fmac_f32_e32 v36, 0xbeedf032, v6
	v_fmac_f32_e32 v34, 0x3eedf032, v6
	v_add_f32_e32 v35, v35, v39
	v_fma_f32 v4, v4, s5, -v7
	v_add_f32_e32 v39, v5, v1
	v_sub_f32_e32 v43, v12, v14
	v_mul_f32_e32 v5, 0xbf788fa5, v41
	v_add_f32_e32 v36, v36, v40
	v_add_f32_e32 v34, v34, v38
	;; [unrolled: 1-line block ×4, first 2 shown]
	v_sub_f32_e32 v42, v11, v13
	v_mul_f32_e32 v4, 0xbe750f2a, v43
	v_mov_b32_e32 v1, v5
	v_mov_b32_e32 v0, v4
	v_fmac_f32_e32 v1, 0x3e750f2a, v42
	v_fma_f32 v4, v40, s12, -v4
	v_fmac_f32_e32 v5, 0xbe750f2a, v42
	v_fmac_f32_e32 v0, 0xbf788fa5, v40
	v_add_f32_e32 v1, v1, v20
	v_add_f32_e32 v4, v4, v8
	;; [unrolled: 1-line block ×3, first 2 shown]
	v_mul_f32_e32 v8, 0x3eedf032, v43
	v_mul_f32_e32 v9, 0x3f62ad3f, v41
	;; [unrolled: 1-line block ×5, first 2 shown]
	v_add_f32_e32 v0, v0, v10
	v_mov_b32_e32 v6, v8
	v_mov_b32_e32 v7, v9
	;; [unrolled: 1-line block ×5, first 2 shown]
	v_fmac_f32_e32 v6, 0x3f62ad3f, v40
	v_fmac_f32_e32 v7, 0xbeedf032, v42
	;; [unrolled: 1-line block ×5, first 2 shown]
	v_add_f32_e32 v6, v6, v21
	v_add_f32_e32 v7, v7, v24
	v_fma_f32 v8, v40, s4, -v8
	v_fmac_f32_e32 v9, 0x3eedf032, v42
	v_add_f32_e32 v10, v10, v25
	v_add_f32_e32 v11, v11, v28
	v_fma_f32 v12, v40, s10, -v12
	v_fmac_f32_e32 v13, 0xbf29c268, v42
	v_add_f32_e32 v14, v14, v29
	v_mul_f32_e32 v21, 0x3f116cb1, v41
	v_fma_f32 v20, v40, s3, -v20
	v_mul_f32_e32 v24, 0xbf6f5d39, v43
	v_mul_f32_e32 v25, 0xbeb58ec6, v41
	;; [unrolled: 1-line block ×4, first 2 shown]
	v_add_f32_e32 v8, v8, v15
	v_add_f32_e32 v9, v9, v22
	;; [unrolled: 1-line block ×4, first 2 shown]
	v_mov_b32_e32 v15, v21
	v_add_f32_e32 v20, v20, v27
	v_mov_b32_e32 v22, v24
	v_mov_b32_e32 v23, v25
	;; [unrolled: 1-line block ×4, first 2 shown]
	v_fmac_f32_e32 v15, 0xbf52af12, v42
	v_fmac_f32_e32 v21, 0x3f52af12, v42
	;; [unrolled: 1-line block ×4, first 2 shown]
	v_fma_f32 v24, v40, s5, -v24
	v_fmac_f32_e32 v25, 0xbf6f5d39, v42
	v_fmac_f32_e32 v26, 0x3df6dbef, v40
	;; [unrolled: 1-line block ×3, first 2 shown]
	v_fma_f32 v28, v40, s2, -v28
	v_fmac_f32_e32 v29, 0x3f7e222b, v42
	v_add_f32_e32 v15, v15, v32
	v_add_f32_e32 v21, v21, v30
	v_add_f32_e32 v22, v22, v33
	v_add_f32_e32 v23, v23, v36
	v_add_f32_e32 v24, v24, v31
	v_add_f32_e32 v25, v25, v34
	v_add_f32_e32 v26, v26, v35
	v_add_f32_e32 v27, v27, v37
	v_add_f32_e32 v28, v28, v38
	v_add_f32_e32 v29, v29, v39
	ds_write2_b64 v93, v[2:3], v[0:1] offset1:91
	ds_write2_b64 v54, v[6:7], v[10:11] offset0:54 offset1:145
	ds_write2_b64 v19, v[14:15], v[22:23] offset0:108 offset1:199
	;; [unrolled: 1-line block ×5, first 2 shown]
	ds_write_b64 v93, v[4:5] offset:8736
	s_waitcnt lgkmcnt(0)
	s_barrier
	ds_read2_b64 v[0:3], v93 offset1:169
	v_mov_b32_e32 v4, v17
	v_mad_u64_u32 v[4:5], s[2:3], s11, v82, v[4:5]
	s_mov_b32 s2, 0x43156c6a
	s_waitcnt lgkmcnt(0)
	v_mul_f32_e32 v5, v88, v1
	v_fmac_f32_e32 v5, v87, v0
	v_cvt_f64_f32_e32 v[5:6], v5
	v_mul_f32_e32 v0, v88, v0
	s_mov_b32 s3, 0x3f4bb2f6
	v_fma_f32 v0, v87, v1, -v0
	v_cvt_f64_f32_e32 v[0:1], v0
	v_mul_f64 v[5:6], v[5:6], s[2:3]
	v_mad_u64_u32 v[7:8], s[4:5], s8, v94, 0
	v_mul_f64 v[0:1], v[0:1], s[2:3]
	v_mov_b32_e32 v17, v4
	v_mov_b32_e32 v4, v8
	s_movk_i32 s10, 0x1000
	v_mad_u64_u32 v[8:9], s[4:5], s9, v94, v[4:5]
	v_mul_f32_e32 v9, v86, v3
	v_fmac_f32_e32 v9, v85, v2
	v_cvt_f64_f32_e32 v[9:10], v9
	v_cvt_f32_f64_e32 v4, v[5:6]
	v_cvt_f32_f64_e32 v5, v[0:1]
	v_lshlrev_b64 v[0:1], 3, v[16:17]
	v_mov_b32_e32 v6, s7
	v_mul_f32_e32 v2, v86, v2
	v_add_co_u32_e32 v11, vcc, s6, v0
	v_fma_f32 v2, v85, v3, -v2
	v_addc_co_u32_e32 v12, vcc, v6, v1, vcc
	v_mul_f64 v[0:1], v[9:10], s[2:3]
	v_cvt_f64_f32_e32 v[2:3], v2
	v_lshlrev_b64 v[6:7], 3, v[7:8]
	s_mul_i32 s4, s9, 0xa9
	v_add_co_u32_e32 v6, vcc, v11, v6
	v_mul_f64 v[8:9], v[2:3], s[2:3]
	v_addc_co_u32_e32 v7, vcc, v12, v7, vcc
	global_store_dwordx2 v[6:7], v[4:5], off
	v_cvt_f32_f64_e32 v4, v[0:1]
	ds_read2_b64 v[0:3], v19 offset0:82 offset1:251
	s_mul_hi_u32 s5, s8, 0xa9
	s_add_i32 s5, s5, s4
	v_cvt_f32_f64_e32 v5, v[8:9]
	s_mul_i32 s4, s8, 0xa9
	s_waitcnt lgkmcnt(0)
	v_mul_f32_e32 v8, v84, v1
	v_fmac_f32_e32 v8, v83, v0
	v_mul_f32_e32 v0, v84, v0
	v_fma_f32 v0, v83, v1, -v0
	v_cvt_f64_f32_e32 v[0:1], v0
	v_cvt_f64_f32_e32 v[8:9], v8
	s_lshl_b64 s[4:5], s[4:5], 3
	v_mov_b32_e32 v14, s5
	v_mul_f64 v[0:1], v[0:1], s[2:3]
	v_mul_f64 v[8:9], v[8:9], s[2:3]
	v_add_co_u32_e32 v6, vcc, s4, v6
	v_addc_co_u32_e32 v7, vcc, v7, v14, vcc
	global_store_dwordx2 v[6:7], v[4:5], off
	v_add_co_u32_e32 v6, vcc, s4, v6
	v_cvt_f32_f64_e32 v5, v[0:1]
	v_mul_f32_e32 v0, v79, v3
	v_fmac_f32_e32 v0, v78, v2
	v_cvt_f32_f64_e32 v4, v[8:9]
	v_cvt_f64_f32_e32 v[8:9], v0
	v_mul_f32_e32 v0, v79, v2
	v_fma_f32 v0, v78, v3, -v0
	v_cvt_f64_f32_e32 v[10:11], v0
	ds_read2_b64 v[0:3], v18 offset0:36 offset1:205
	v_mul_f64 v[8:9], v[8:9], s[2:3]
	v_addc_co_u32_e32 v7, vcc, v7, v14, vcc
	v_mul_f64 v[10:11], v[10:11], s[2:3]
	s_waitcnt lgkmcnt(0)
	v_mul_f32_e32 v12, v81, v1
	v_fmac_f32_e32 v12, v80, v0
	v_cvt_f64_f32_e32 v[12:13], v12
	v_mul_f32_e32 v0, v81, v0
	v_fma_f32 v0, v80, v1, -v0
	v_cvt_f64_f32_e32 v[0:1], v0
	global_store_dwordx2 v[6:7], v[4:5], off
	v_cvt_f32_f64_e32 v4, v[8:9]
	v_mul_f64 v[8:9], v[12:13], s[2:3]
	v_mul_f64 v[0:1], v[0:1], s[2:3]
	v_cvt_f32_f64_e32 v5, v[10:11]
	v_add_co_u32_e32 v6, vcc, s4, v6
	v_addc_co_u32_e32 v7, vcc, v7, v14, vcc
	global_store_dwordx2 v[6:7], v[4:5], off
	v_cvt_f32_f64_e32 v4, v[8:9]
	ds_read_b64 v[8:9], v93 offset:8112
	v_cvt_f32_f64_e32 v5, v[0:1]
	v_mul_f32_e32 v0, v77, v3
	v_fmac_f32_e32 v0, v76, v2
	v_mul_f32_e32 v2, v77, v2
	v_fma_f32 v2, v76, v3, -v2
	s_waitcnt lgkmcnt(0)
	v_mul_f32_e32 v10, v75, v9
	v_cvt_f64_f32_e32 v[0:1], v0
	v_cvt_f64_f32_e32 v[2:3], v2
	v_fmac_f32_e32 v10, v74, v8
	v_mul_f32_e32 v8, v75, v8
	v_fma_f32 v8, v74, v9, -v8
	v_cvt_f64_f32_e32 v[10:11], v10
	v_cvt_f64_f32_e32 v[8:9], v8
	v_add_co_u32_e32 v6, vcc, s4, v6
	v_mul_f64 v[0:1], v[0:1], s[2:3]
	v_mul_f64 v[2:3], v[2:3], s[2:3]
	v_addc_co_u32_e32 v7, vcc, v7, v14, vcc
	global_store_dwordx2 v[6:7], v[4:5], off
	v_mul_f64 v[4:5], v[10:11], s[2:3]
	v_mul_f64 v[8:9], v[8:9], s[2:3]
	v_cvt_f32_f64_e32 v0, v[0:1]
	v_cvt_f32_f64_e32 v1, v[2:3]
	v_add_co_u32_e32 v2, vcc, s4, v6
	v_addc_co_u32_e32 v3, vcc, v7, v14, vcc
	v_cvt_f32_f64_e32 v4, v[4:5]
	v_cvt_f32_f64_e32 v5, v[8:9]
	global_store_dwordx2 v[2:3], v[0:1], off
	v_add_co_u32_e32 v0, vcc, s4, v2
	v_addc_co_u32_e32 v1, vcc, v3, v14, vcc
	global_store_dwordx2 v[0:1], v[4:5], off
	s_and_b64 exec, exec, s[0:1]
	s_cbranch_execz .LBB0_15
; %bb.14:
	global_load_dwordx2 v[14:15], v[72:73], off offset:728
	global_load_dwordx2 v[16:17], v[72:73], off offset:2080
	global_load_dwordx2 v[18:19], v[72:73], off offset:3432
	v_add_co_u32_e32 v20, vcc, s10, v72
	v_addc_co_u32_e32 v21, vcc, 0, v73, vcc
	global_load_dwordx2 v[22:23], v[20:21], off offset:688
	global_load_dwordx2 v[24:25], v[20:21], off offset:2040
	v_add_u32_e32 v2, 0x200, v93
	ds_read2_b64 v[2:5], v2 offset0:27 offset1:196
	v_mov_b32_e32 v6, 0xffffe328
	v_add_u32_e32 v7, 0xc00, v93
	v_add_u32_e32 v10, 0x1600, v93
	v_mad_u64_u32 v[0:1], s[0:1], s8, v6, v[0:1]
	ds_read2_b64 v[6:9], v7 offset0:45 offset1:214
	ds_read2_b64 v[10:13], v10 offset0:63 offset1:232
	s_mul_i32 s6, s9, 0xffffe328
	s_sub_i32 s0, s6, s8
	v_mov_b32_e32 v34, s5
	v_add_u32_e32 v1, s0, v1
	v_add_co_u32_e32 v26, vcc, s4, v0
	v_addc_co_u32_e32 v27, vcc, v1, v34, vcc
	v_add_co_u32_e32 v28, vcc, s4, v26
	v_addc_co_u32_e32 v29, vcc, v27, v34, vcc
	;; [unrolled: 2-line block ×4, first 2 shown]
	s_movk_i32 s0, 0x2000
	s_waitcnt vmcnt(4) lgkmcnt(2)
	v_mul_f32_e32 v35, v3, v15
	v_mul_f32_e32 v15, v2, v15
	s_waitcnt vmcnt(3)
	v_mul_f32_e32 v36, v5, v17
	v_mul_f32_e32 v17, v4, v17
	v_fmac_f32_e32 v35, v2, v14
	v_fma_f32 v14, v14, v3, -v15
	s_waitcnt vmcnt(2) lgkmcnt(1)
	v_mul_f32_e32 v37, v7, v19
	v_mul_f32_e32 v19, v6, v19
	v_fmac_f32_e32 v36, v4, v16
	v_fma_f32 v15, v16, v5, -v17
	v_cvt_f64_f32_e32 v[2:3], v35
	v_cvt_f64_f32_e32 v[4:5], v14
	v_fmac_f32_e32 v37, v6, v18
	v_fma_f32 v18, v18, v7, -v19
	s_waitcnt vmcnt(1)
	v_mul_f32_e32 v38, v9, v23
	v_mul_f32_e32 v23, v8, v23
	v_cvt_f64_f32_e32 v[6:7], v36
	v_cvt_f64_f32_e32 v[14:15], v15
	s_waitcnt vmcnt(0) lgkmcnt(0)
	v_mul_f32_e32 v39, v11, v25
	v_mul_f32_e32 v25, v10, v25
	v_cvt_f64_f32_e32 v[16:17], v37
	v_cvt_f64_f32_e32 v[18:19], v18
	v_fmac_f32_e32 v38, v8, v22
	v_fma_f32 v22, v22, v9, -v23
	v_fmac_f32_e32 v39, v10, v24
	v_fma_f32 v24, v24, v11, -v25
	v_cvt_f64_f32_e32 v[8:9], v38
	v_cvt_f64_f32_e32 v[10:11], v22
	;; [unrolled: 1-line block ×4, first 2 shown]
	v_mul_f64 v[2:3], v[2:3], s[2:3]
	v_mul_f64 v[4:5], v[4:5], s[2:3]
	;; [unrolled: 1-line block ×10, first 2 shown]
	v_cvt_f32_f64_e32 v2, v[2:3]
	v_cvt_f32_f64_e32 v3, v[4:5]
	;; [unrolled: 1-line block ×10, first 2 shown]
	global_store_dwordx2 v[0:1], v[2:3], off
	global_store_dwordx2 v[26:27], v[4:5], off
	;; [unrolled: 1-line block ×5, first 2 shown]
	global_load_dwordx2 v[0:1], v[20:21], off offset:3392
	v_add_co_u32_e32 v4, vcc, s0, v72
	v_addc_co_u32_e32 v5, vcc, 0, v73, vcc
	s_waitcnt vmcnt(0)
	v_mul_f32_e32 v2, v13, v1
	v_mul_f32_e32 v1, v12, v1
	v_fmac_f32_e32 v2, v12, v0
	v_fma_f32 v3, v0, v13, -v1
	v_cvt_f64_f32_e32 v[0:1], v2
	v_cvt_f64_f32_e32 v[2:3], v3
	v_mul_f64 v[0:1], v[0:1], s[2:3]
	v_mul_f64 v[2:3], v[2:3], s[2:3]
	v_cvt_f32_f64_e32 v0, v[0:1]
	v_cvt_f32_f64_e32 v1, v[2:3]
	v_add_co_u32_e32 v2, vcc, s4, v32
	v_addc_co_u32_e32 v3, vcc, v33, v34, vcc
	global_store_dwordx2 v[2:3], v[0:1], off
	global_load_dwordx2 v[0:1], v[4:5], off offset:648
	ds_read_b64 v[4:5], v93 offset:8840
	v_add_co_u32_e32 v2, vcc, s4, v2
	v_addc_co_u32_e32 v3, vcc, v3, v34, vcc
	s_waitcnt vmcnt(0) lgkmcnt(0)
	v_mul_f32_e32 v6, v5, v1
	v_mul_f32_e32 v1, v4, v1
	v_fmac_f32_e32 v6, v4, v0
	v_fma_f32 v4, v0, v5, -v1
	v_cvt_f64_f32_e32 v[0:1], v6
	v_cvt_f64_f32_e32 v[4:5], v4
	v_mul_f64 v[0:1], v[0:1], s[2:3]
	v_mul_f64 v[4:5], v[4:5], s[2:3]
	v_cvt_f32_f64_e32 v0, v[0:1]
	v_cvt_f32_f64_e32 v1, v[4:5]
	global_store_dwordx2 v[2:3], v[0:1], off
.LBB0_15:
	s_endpgm
	.section	.rodata,"a",@progbits
	.p2align	6, 0x0
	.amdhsa_kernel bluestein_single_back_len1183_dim1_sp_op_CI_CI
		.amdhsa_group_segment_fixed_size 18928
		.amdhsa_private_segment_fixed_size 0
		.amdhsa_kernarg_size 104
		.amdhsa_user_sgpr_count 6
		.amdhsa_user_sgpr_private_segment_buffer 1
		.amdhsa_user_sgpr_dispatch_ptr 0
		.amdhsa_user_sgpr_queue_ptr 0
		.amdhsa_user_sgpr_kernarg_segment_ptr 1
		.amdhsa_user_sgpr_dispatch_id 0
		.amdhsa_user_sgpr_flat_scratch_init 0
		.amdhsa_user_sgpr_private_segment_size 0
		.amdhsa_uses_dynamic_stack 0
		.amdhsa_system_sgpr_private_segment_wavefront_offset 0
		.amdhsa_system_sgpr_workgroup_id_x 1
		.amdhsa_system_sgpr_workgroup_id_y 0
		.amdhsa_system_sgpr_workgroup_id_z 0
		.amdhsa_system_sgpr_workgroup_info 0
		.amdhsa_system_vgpr_workitem_id 0
		.amdhsa_next_free_vgpr 152
		.amdhsa_next_free_sgpr 22
		.amdhsa_reserve_vcc 1
		.amdhsa_reserve_flat_scratch 0
		.amdhsa_float_round_mode_32 0
		.amdhsa_float_round_mode_16_64 0
		.amdhsa_float_denorm_mode_32 3
		.amdhsa_float_denorm_mode_16_64 3
		.amdhsa_dx10_clamp 1
		.amdhsa_ieee_mode 1
		.amdhsa_fp16_overflow 0
		.amdhsa_exception_fp_ieee_invalid_op 0
		.amdhsa_exception_fp_denorm_src 0
		.amdhsa_exception_fp_ieee_div_zero 0
		.amdhsa_exception_fp_ieee_overflow 0
		.amdhsa_exception_fp_ieee_underflow 0
		.amdhsa_exception_fp_ieee_inexact 0
		.amdhsa_exception_int_div_zero 0
	.end_amdhsa_kernel
	.text
.Lfunc_end0:
	.size	bluestein_single_back_len1183_dim1_sp_op_CI_CI, .Lfunc_end0-bluestein_single_back_len1183_dim1_sp_op_CI_CI
                                        ; -- End function
	.section	.AMDGPU.csdata,"",@progbits
; Kernel info:
; codeLenInByte = 18272
; NumSgprs: 26
; NumVgprs: 152
; ScratchSize: 0
; MemoryBound: 0
; FloatMode: 240
; IeeeMode: 1
; LDSByteSize: 18928 bytes/workgroup (compile time only)
; SGPRBlocks: 3
; VGPRBlocks: 37
; NumSGPRsForWavesPerEU: 26
; NumVGPRsForWavesPerEU: 152
; Occupancy: 1
; WaveLimiterHint : 1
; COMPUTE_PGM_RSRC2:SCRATCH_EN: 0
; COMPUTE_PGM_RSRC2:USER_SGPR: 6
; COMPUTE_PGM_RSRC2:TRAP_HANDLER: 0
; COMPUTE_PGM_RSRC2:TGID_X_EN: 1
; COMPUTE_PGM_RSRC2:TGID_Y_EN: 0
; COMPUTE_PGM_RSRC2:TGID_Z_EN: 0
; COMPUTE_PGM_RSRC2:TIDIG_COMP_CNT: 0
	.type	__hip_cuid_91c40e70579caea7,@object ; @__hip_cuid_91c40e70579caea7
	.section	.bss,"aw",@nobits
	.globl	__hip_cuid_91c40e70579caea7
__hip_cuid_91c40e70579caea7:
	.byte	0                               ; 0x0
	.size	__hip_cuid_91c40e70579caea7, 1

	.ident	"AMD clang version 19.0.0git (https://github.com/RadeonOpenCompute/llvm-project roc-6.4.0 25133 c7fe45cf4b819c5991fe208aaa96edf142730f1d)"
	.section	".note.GNU-stack","",@progbits
	.addrsig
	.addrsig_sym __hip_cuid_91c40e70579caea7
	.amdgpu_metadata
---
amdhsa.kernels:
  - .args:
      - .actual_access:  read_only
        .address_space:  global
        .offset:         0
        .size:           8
        .value_kind:     global_buffer
      - .actual_access:  read_only
        .address_space:  global
        .offset:         8
        .size:           8
        .value_kind:     global_buffer
      - .actual_access:  read_only
        .address_space:  global
        .offset:         16
        .size:           8
        .value_kind:     global_buffer
      - .actual_access:  read_only
        .address_space:  global
        .offset:         24
        .size:           8
        .value_kind:     global_buffer
      - .actual_access:  read_only
        .address_space:  global
        .offset:         32
        .size:           8
        .value_kind:     global_buffer
      - .offset:         40
        .size:           8
        .value_kind:     by_value
      - .address_space:  global
        .offset:         48
        .size:           8
        .value_kind:     global_buffer
      - .address_space:  global
        .offset:         56
        .size:           8
        .value_kind:     global_buffer
      - .address_space:  global
        .offset:         64
        .size:           8
        .value_kind:     global_buffer
      - .address_space:  global
        .offset:         72
        .size:           8
        .value_kind:     global_buffer
      - .offset:         80
        .size:           4
        .value_kind:     by_value
      - .address_space:  global
        .offset:         88
        .size:           8
        .value_kind:     global_buffer
      - .address_space:  global
        .offset:         96
        .size:           8
        .value_kind:     global_buffer
    .group_segment_fixed_size: 18928
    .kernarg_segment_align: 8
    .kernarg_segment_size: 104
    .language:       OpenCL C
    .language_version:
      - 2
      - 0
    .max_flat_workgroup_size: 182
    .name:           bluestein_single_back_len1183_dim1_sp_op_CI_CI
    .private_segment_fixed_size: 0
    .sgpr_count:     26
    .sgpr_spill_count: 0
    .symbol:         bluestein_single_back_len1183_dim1_sp_op_CI_CI.kd
    .uniform_work_group_size: 1
    .uses_dynamic_stack: false
    .vgpr_count:     152
    .vgpr_spill_count: 0
    .wavefront_size: 64
amdhsa.target:   amdgcn-amd-amdhsa--gfx906
amdhsa.version:
  - 1
  - 2
...

	.end_amdgpu_metadata
